;; amdgpu-corpus repo=ROCm/rocFFT kind=compiled arch=gfx1201 opt=O3
	.text
	.amdgcn_target "amdgcn-amd-amdhsa--gfx1201"
	.amdhsa_code_object_version 6
	.protected	fft_rtc_back_len1400_factors_2_2_2_5_7_5_wgs_56_tpt_56_halfLds_dp_op_CI_CI_unitstride_sbrr_dirReg ; -- Begin function fft_rtc_back_len1400_factors_2_2_2_5_7_5_wgs_56_tpt_56_halfLds_dp_op_CI_CI_unitstride_sbrr_dirReg
	.globl	fft_rtc_back_len1400_factors_2_2_2_5_7_5_wgs_56_tpt_56_halfLds_dp_op_CI_CI_unitstride_sbrr_dirReg
	.p2align	8
	.type	fft_rtc_back_len1400_factors_2_2_2_5_7_5_wgs_56_tpt_56_halfLds_dp_op_CI_CI_unitstride_sbrr_dirReg,@function
fft_rtc_back_len1400_factors_2_2_2_5_7_5_wgs_56_tpt_56_halfLds_dp_op_CI_CI_unitstride_sbrr_dirReg: ; @fft_rtc_back_len1400_factors_2_2_2_5_7_5_wgs_56_tpt_56_halfLds_dp_op_CI_CI_unitstride_sbrr_dirReg
; %bb.0:
	s_clause 0x2
	s_load_b128 s[8:11], s[0:1], 0x0
	s_load_b128 s[4:7], s[0:1], 0x58
	;; [unrolled: 1-line block ×3, first 2 shown]
	v_mul_u32_u24_e32 v1, 0x493, v0
	v_mov_b32_e32 v4, 0
	v_mov_b32_e32 v5, 0
	s_delay_alu instid0(VALU_DEP_3) | instskip(NEXT) | instid1(VALU_DEP_1)
	v_lshrrev_b32_e32 v2, 16, v1
	v_dual_mov_b32 v1, 0 :: v_dual_add_nc_u32 v6, ttmp9, v2
	s_delay_alu instid0(VALU_DEP_1) | instskip(SKIP_2) | instid1(VALU_DEP_1)
	v_mov_b32_e32 v7, v1
	s_wait_kmcnt 0x0
	v_cmp_lt_u64_e64 s2, s[10:11], 2
	s_and_b32 vcc_lo, exec_lo, s2
	s_cbranch_vccnz .LBB0_8
; %bb.1:
	s_load_b64 s[2:3], s[0:1], 0x10
	v_mov_b32_e32 v4, 0
	v_mov_b32_e32 v5, 0
	s_add_nc_u64 s[16:17], s[14:15], 8
	s_add_nc_u64 s[18:19], s[12:13], 8
	s_mov_b64 s[20:21], 1
	s_delay_alu instid0(VALU_DEP_1)
	v_dual_mov_b32 v151, v5 :: v_dual_mov_b32 v150, v4
	s_wait_kmcnt 0x0
	s_add_nc_u64 s[22:23], s[2:3], 8
	s_mov_b32 s3, 0
.LBB0_2:                                ; =>This Inner Loop Header: Depth=1
	s_load_b64 s[24:25], s[22:23], 0x0
                                        ; implicit-def: $vgpr152_vgpr153
	s_mov_b32 s2, exec_lo
	s_wait_kmcnt 0x0
	v_or_b32_e32 v2, s25, v7
	s_delay_alu instid0(VALU_DEP_1)
	v_cmpx_ne_u64_e32 0, v[1:2]
	s_wait_alu 0xfffe
	s_xor_b32 s26, exec_lo, s2
	s_cbranch_execz .LBB0_4
; %bb.3:                                ;   in Loop: Header=BB0_2 Depth=1
	s_cvt_f32_u32 s2, s24
	s_cvt_f32_u32 s27, s25
	s_sub_nc_u64 s[30:31], 0, s[24:25]
	s_wait_alu 0xfffe
	s_delay_alu instid0(SALU_CYCLE_1) | instskip(SKIP_1) | instid1(SALU_CYCLE_2)
	s_fmamk_f32 s2, s27, 0x4f800000, s2
	s_wait_alu 0xfffe
	v_s_rcp_f32 s2, s2
	s_delay_alu instid0(TRANS32_DEP_1) | instskip(SKIP_1) | instid1(SALU_CYCLE_2)
	s_mul_f32 s2, s2, 0x5f7ffffc
	s_wait_alu 0xfffe
	s_mul_f32 s27, s2, 0x2f800000
	s_wait_alu 0xfffe
	s_delay_alu instid0(SALU_CYCLE_2) | instskip(SKIP_1) | instid1(SALU_CYCLE_2)
	s_trunc_f32 s27, s27
	s_wait_alu 0xfffe
	s_fmamk_f32 s2, s27, 0xcf800000, s2
	s_cvt_u32_f32 s29, s27
	s_wait_alu 0xfffe
	s_delay_alu instid0(SALU_CYCLE_1) | instskip(SKIP_1) | instid1(SALU_CYCLE_2)
	s_cvt_u32_f32 s28, s2
	s_wait_alu 0xfffe
	s_mul_u64 s[34:35], s[30:31], s[28:29]
	s_wait_alu 0xfffe
	s_mul_hi_u32 s37, s28, s35
	s_mul_i32 s36, s28, s35
	s_mul_hi_u32 s2, s28, s34
	s_mul_i32 s33, s29, s34
	s_wait_alu 0xfffe
	s_add_nc_u64 s[36:37], s[2:3], s[36:37]
	s_mul_hi_u32 s27, s29, s34
	s_mul_hi_u32 s38, s29, s35
	s_add_co_u32 s2, s36, s33
	s_wait_alu 0xfffe
	s_add_co_ci_u32 s2, s37, s27
	s_mul_i32 s34, s29, s35
	s_add_co_ci_u32 s35, s38, 0
	s_wait_alu 0xfffe
	s_add_nc_u64 s[34:35], s[2:3], s[34:35]
	s_wait_alu 0xfffe
	v_add_co_u32 v2, s2, s28, s34
	s_delay_alu instid0(VALU_DEP_1) | instskip(SKIP_1) | instid1(VALU_DEP_1)
	s_cmp_lg_u32 s2, 0
	s_add_co_ci_u32 s29, s29, s35
	v_readfirstlane_b32 s28, v2
	s_wait_alu 0xfffe
	s_delay_alu instid0(VALU_DEP_1)
	s_mul_u64 s[30:31], s[30:31], s[28:29]
	s_wait_alu 0xfffe
	s_mul_hi_u32 s35, s28, s31
	s_mul_i32 s34, s28, s31
	s_mul_hi_u32 s2, s28, s30
	s_mul_i32 s33, s29, s30
	s_wait_alu 0xfffe
	s_add_nc_u64 s[34:35], s[2:3], s[34:35]
	s_mul_hi_u32 s27, s29, s30
	s_mul_hi_u32 s28, s29, s31
	s_wait_alu 0xfffe
	s_add_co_u32 s2, s34, s33
	s_add_co_ci_u32 s2, s35, s27
	s_mul_i32 s30, s29, s31
	s_add_co_ci_u32 s31, s28, 0
	s_wait_alu 0xfffe
	s_add_nc_u64 s[30:31], s[2:3], s[30:31]
	s_wait_alu 0xfffe
	v_add_co_u32 v8, s2, v2, s30
	s_delay_alu instid0(VALU_DEP_1) | instskip(SKIP_1) | instid1(VALU_DEP_1)
	s_cmp_lg_u32 s2, 0
	s_add_co_ci_u32 s2, s29, s31
	v_mul_hi_u32 v12, v6, v8
	s_wait_alu 0xfffe
	v_mad_co_u64_u32 v[2:3], null, v6, s2, 0
	v_mad_co_u64_u32 v[8:9], null, v7, v8, 0
	;; [unrolled: 1-line block ×3, first 2 shown]
	s_delay_alu instid0(VALU_DEP_3) | instskip(SKIP_1) | instid1(VALU_DEP_4)
	v_add_co_u32 v2, vcc_lo, v12, v2
	s_wait_alu 0xfffd
	v_add_co_ci_u32_e32 v3, vcc_lo, 0, v3, vcc_lo
	s_delay_alu instid0(VALU_DEP_2) | instskip(SKIP_1) | instid1(VALU_DEP_2)
	v_add_co_u32 v2, vcc_lo, v2, v8
	s_wait_alu 0xfffd
	v_add_co_ci_u32_e32 v2, vcc_lo, v3, v9, vcc_lo
	s_wait_alu 0xfffd
	v_add_co_ci_u32_e32 v3, vcc_lo, 0, v11, vcc_lo
	s_delay_alu instid0(VALU_DEP_2) | instskip(SKIP_1) | instid1(VALU_DEP_2)
	v_add_co_u32 v8, vcc_lo, v2, v10
	s_wait_alu 0xfffd
	v_add_co_ci_u32_e32 v9, vcc_lo, 0, v3, vcc_lo
	s_delay_alu instid0(VALU_DEP_2) | instskip(SKIP_1) | instid1(VALU_DEP_3)
	v_mul_lo_u32 v10, s25, v8
	v_mad_co_u64_u32 v[2:3], null, s24, v8, 0
	v_mul_lo_u32 v11, s24, v9
	s_delay_alu instid0(VALU_DEP_2) | instskip(NEXT) | instid1(VALU_DEP_2)
	v_sub_co_u32 v2, vcc_lo, v6, v2
	v_add3_u32 v3, v3, v11, v10
	s_delay_alu instid0(VALU_DEP_1) | instskip(SKIP_1) | instid1(VALU_DEP_1)
	v_sub_nc_u32_e32 v10, v7, v3
	s_wait_alu 0xfffd
	v_subrev_co_ci_u32_e64 v10, s2, s25, v10, vcc_lo
	v_add_co_u32 v11, s2, v8, 2
	s_wait_alu 0xf1ff
	v_add_co_ci_u32_e64 v12, s2, 0, v9, s2
	v_sub_co_u32 v13, s2, v2, s24
	v_sub_co_ci_u32_e32 v3, vcc_lo, v7, v3, vcc_lo
	s_wait_alu 0xf1ff
	v_subrev_co_ci_u32_e64 v10, s2, 0, v10, s2
	s_delay_alu instid0(VALU_DEP_3) | instskip(NEXT) | instid1(VALU_DEP_3)
	v_cmp_le_u32_e32 vcc_lo, s24, v13
	v_cmp_eq_u32_e64 s2, s25, v3
	s_wait_alu 0xfffd
	v_cndmask_b32_e64 v13, 0, -1, vcc_lo
	v_cmp_le_u32_e32 vcc_lo, s25, v10
	s_wait_alu 0xfffd
	v_cndmask_b32_e64 v14, 0, -1, vcc_lo
	v_cmp_le_u32_e32 vcc_lo, s24, v2
	;; [unrolled: 3-line block ×3, first 2 shown]
	s_wait_alu 0xfffd
	v_cndmask_b32_e64 v15, 0, -1, vcc_lo
	v_cmp_eq_u32_e32 vcc_lo, s25, v10
	s_wait_alu 0xf1ff
	s_delay_alu instid0(VALU_DEP_2)
	v_cndmask_b32_e64 v2, v15, v2, s2
	s_wait_alu 0xfffd
	v_cndmask_b32_e32 v10, v14, v13, vcc_lo
	v_add_co_u32 v13, vcc_lo, v8, 1
	s_wait_alu 0xfffd
	v_add_co_ci_u32_e32 v14, vcc_lo, 0, v9, vcc_lo
	s_delay_alu instid0(VALU_DEP_3) | instskip(SKIP_1) | instid1(VALU_DEP_2)
	v_cmp_ne_u32_e32 vcc_lo, 0, v10
	s_wait_alu 0xfffd
	v_dual_cndmask_b32 v3, v14, v12 :: v_dual_cndmask_b32 v10, v13, v11
	v_cmp_ne_u32_e32 vcc_lo, 0, v2
	s_wait_alu 0xfffd
	s_delay_alu instid0(VALU_DEP_2)
	v_dual_cndmask_b32 v153, v9, v3 :: v_dual_cndmask_b32 v152, v8, v10
.LBB0_4:                                ;   in Loop: Header=BB0_2 Depth=1
	s_wait_alu 0xfffe
	s_and_not1_saveexec_b32 s2, s26
	s_cbranch_execz .LBB0_6
; %bb.5:                                ;   in Loop: Header=BB0_2 Depth=1
	v_cvt_f32_u32_e32 v2, s24
	s_sub_co_i32 s26, 0, s24
	v_mov_b32_e32 v153, v1
	s_delay_alu instid0(VALU_DEP_2) | instskip(NEXT) | instid1(TRANS32_DEP_1)
	v_rcp_iflag_f32_e32 v2, v2
	v_mul_f32_e32 v2, 0x4f7ffffe, v2
	s_delay_alu instid0(VALU_DEP_1) | instskip(SKIP_1) | instid1(VALU_DEP_1)
	v_cvt_u32_f32_e32 v2, v2
	s_wait_alu 0xfffe
	v_mul_lo_u32 v3, s26, v2
	s_delay_alu instid0(VALU_DEP_1) | instskip(NEXT) | instid1(VALU_DEP_1)
	v_mul_hi_u32 v3, v2, v3
	v_add_nc_u32_e32 v2, v2, v3
	s_delay_alu instid0(VALU_DEP_1) | instskip(NEXT) | instid1(VALU_DEP_1)
	v_mul_hi_u32 v2, v6, v2
	v_mul_lo_u32 v3, v2, s24
	v_add_nc_u32_e32 v8, 1, v2
	s_delay_alu instid0(VALU_DEP_2) | instskip(NEXT) | instid1(VALU_DEP_1)
	v_sub_nc_u32_e32 v3, v6, v3
	v_subrev_nc_u32_e32 v9, s24, v3
	v_cmp_le_u32_e32 vcc_lo, s24, v3
	s_wait_alu 0xfffd
	s_delay_alu instid0(VALU_DEP_2) | instskip(NEXT) | instid1(VALU_DEP_1)
	v_dual_cndmask_b32 v3, v3, v9 :: v_dual_cndmask_b32 v2, v2, v8
	v_cmp_le_u32_e32 vcc_lo, s24, v3
	s_delay_alu instid0(VALU_DEP_2) | instskip(SKIP_1) | instid1(VALU_DEP_1)
	v_add_nc_u32_e32 v8, 1, v2
	s_wait_alu 0xfffd
	v_cndmask_b32_e32 v152, v2, v8, vcc_lo
.LBB0_6:                                ;   in Loop: Header=BB0_2 Depth=1
	s_wait_alu 0xfffe
	s_or_b32 exec_lo, exec_lo, s2
	v_mul_lo_u32 v8, v153, s24
	s_delay_alu instid0(VALU_DEP_2)
	v_mul_lo_u32 v9, v152, s25
	s_load_b64 s[26:27], s[18:19], 0x0
	v_mad_co_u64_u32 v[2:3], null, v152, s24, 0
	s_load_b64 s[24:25], s[16:17], 0x0
	s_add_nc_u64 s[20:21], s[20:21], 1
	s_add_nc_u64 s[16:17], s[16:17], 8
	s_wait_alu 0xfffe
	v_cmp_ge_u64_e64 s2, s[20:21], s[10:11]
	s_add_nc_u64 s[18:19], s[18:19], 8
	s_add_nc_u64 s[22:23], s[22:23], 8
	v_add3_u32 v3, v3, v9, v8
	v_sub_co_u32 v2, vcc_lo, v6, v2
	s_wait_alu 0xfffd
	s_delay_alu instid0(VALU_DEP_2) | instskip(SKIP_2) | instid1(VALU_DEP_1)
	v_sub_co_ci_u32_e32 v3, vcc_lo, v7, v3, vcc_lo
	s_and_b32 vcc_lo, exec_lo, s2
	s_wait_kmcnt 0x0
	v_mul_lo_u32 v6, s26, v3
	v_mul_lo_u32 v7, s27, v2
	v_mad_co_u64_u32 v[4:5], null, s26, v2, v[4:5]
	v_mul_lo_u32 v3, s24, v3
	v_mul_lo_u32 v8, s25, v2
	v_mad_co_u64_u32 v[150:151], null, s24, v2, v[150:151]
	s_delay_alu instid0(VALU_DEP_4) | instskip(NEXT) | instid1(VALU_DEP_2)
	v_add3_u32 v5, v7, v5, v6
	v_add3_u32 v151, v8, v151, v3
	s_wait_alu 0xfffe
	s_cbranch_vccnz .LBB0_9
; %bb.7:                                ;   in Loop: Header=BB0_2 Depth=1
	v_dual_mov_b32 v6, v152 :: v_dual_mov_b32 v7, v153
	s_branch .LBB0_2
.LBB0_8:
	v_dual_mov_b32 v151, v5 :: v_dual_mov_b32 v150, v4
	v_dual_mov_b32 v153, v7 :: v_dual_mov_b32 v152, v6
.LBB0_9:
	s_load_b64 s[0:1], s[0:1], 0x28
	v_mul_hi_u32 v1, 0x4924925, v0
	s_lshl_b64 s[10:11], s[10:11], 3
                                        ; implicit-def: $vgpr163
                                        ; implicit-def: $vgpr159
	s_wait_alu 0xfffe
	s_add_nc_u64 s[2:3], s[14:15], s[10:11]
	s_wait_kmcnt 0x0
	v_cmp_gt_u64_e32 vcc_lo, s[0:1], v[152:153]
	v_cmp_le_u64_e64 s0, s[0:1], v[152:153]
	s_delay_alu instid0(VALU_DEP_1)
	s_and_saveexec_b32 s1, s0
	s_wait_alu 0xfffe
	s_xor_b32 s0, exec_lo, s1
; %bb.10:
	v_mul_u32_u24_e32 v1, 56, v1
                                        ; implicit-def: $vgpr4_vgpr5
	s_delay_alu instid0(VALU_DEP_1) | instskip(NEXT) | instid1(VALU_DEP_1)
	v_sub_nc_u32_e32 v163, v0, v1
                                        ; implicit-def: $vgpr1
                                        ; implicit-def: $vgpr0
	v_or_b32_e32 v159, 0x1c0, v163
; %bb.11:
	s_wait_alu 0xfffe
	s_or_saveexec_b32 s1, s0
	s_load_b64 s[2:3], s[2:3], 0x0
                                        ; implicit-def: $vgpr62_vgpr63
                                        ; implicit-def: $vgpr14_vgpr15
                                        ; implicit-def: $vgpr54_vgpr55
                                        ; implicit-def: $vgpr2_vgpr3
                                        ; implicit-def: $vgpr58_vgpr59
                                        ; implicit-def: $vgpr10_vgpr11
                                        ; implicit-def: $vgpr66_vgpr67
                                        ; implicit-def: $vgpr6_vgpr7
                                        ; implicit-def: $vgpr70_vgpr71
                                        ; implicit-def: $vgpr22_vgpr23
                                        ; implicit-def: $vgpr74_vgpr75
                                        ; implicit-def: $vgpr18_vgpr19
                                        ; implicit-def: $vgpr80_vgpr81
                                        ; implicit-def: $vgpr30_vgpr31
                                        ; implicit-def: $vgpr84_vgpr85
                                        ; implicit-def: $vgpr26_vgpr27
                                        ; implicit-def: $vgpr88_vgpr89
                                        ; implicit-def: $vgpr38_vgpr39
                                        ; implicit-def: $vgpr92_vgpr93
                                        ; implicit-def: $vgpr34_vgpr35
                                        ; implicit-def: $vgpr96_vgpr97
                                        ; implicit-def: $vgpr46_vgpr47
                                        ; implicit-def: $vgpr100_vgpr101
                                        ; implicit-def: $vgpr42_vgpr43
                                        ; implicit-def: $vgpr104_vgpr105
                                        ; implicit-def: $vgpr50_vgpr51
	s_xor_b32 exec_lo, exec_lo, s1
	s_cbranch_execz .LBB0_15
; %bb.12:
	s_add_nc_u64 s[10:11], s[12:13], s[10:11]
                                        ; implicit-def: $vgpr12_vgpr13
                                        ; implicit-def: $vgpr60_vgpr61
	s_load_b64 s[10:11], s[10:11], 0x0
	s_wait_kmcnt 0x0
	v_mul_lo_u32 v6, s11, v152
	v_mul_lo_u32 v7, s10, v153
	v_mad_co_u64_u32 v[2:3], null, s10, v152, 0
	s_delay_alu instid0(VALU_DEP_1) | instskip(SKIP_1) | instid1(VALU_DEP_2)
	v_add3_u32 v3, v3, v7, v6
	v_mul_u32_u24_e32 v6, 56, v1
	v_lshlrev_b64_e32 v[1:2], 4, v[2:3]
	v_lshlrev_b64_e32 v[3:4], 4, v[4:5]
	s_delay_alu instid0(VALU_DEP_3) | instskip(NEXT) | instid1(VALU_DEP_3)
	v_sub_nc_u32_e32 v163, v0, v6
	v_add_co_u32 v0, s0, s4, v1
	s_wait_alu 0xf1ff
	s_delay_alu instid0(VALU_DEP_4) | instskip(NEXT) | instid1(VALU_DEP_3)
	v_add_co_ci_u32_e64 v1, s0, s5, v2, s0
	v_lshlrev_b32_e32 v2, 4, v163
	s_delay_alu instid0(VALU_DEP_3) | instskip(SKIP_1) | instid1(VALU_DEP_3)
	v_add_co_u32 v0, s0, v0, v3
	s_wait_alu 0xf1ff
	v_add_co_ci_u32_e64 v1, s0, v1, v4, s0
	s_mov_b32 s4, exec_lo
	s_delay_alu instid0(VALU_DEP_2) | instskip(SKIP_1) | instid1(VALU_DEP_2)
	v_add_co_u32 v62, s0, v0, v2
	s_wait_alu 0xf1ff
	v_add_co_ci_u32_e64 v63, s0, 0, v1, s0
	s_clause 0x17
	global_load_b128 v[48:51], v[62:63], off
	global_load_b128 v[40:43], v[62:63], off offset:896
	global_load_b128 v[102:105], v[62:63], off offset:11200
	;; [unrolled: 1-line block ×23, first 2 shown]
	v_cmpx_gt_u32_e32 28, v163
; %bb.13:
	s_clause 0x1
	global_load_b128 v[12:15], v[62:63], off offset:10752
	global_load_b128 v[60:63], v[62:63], off offset:21952
; %bb.14:
	s_wait_alu 0xfffe
	s_or_b32 exec_lo, exec_lo, s4
	v_or_b32_e32 v159, 0x1c0, v163
.LBB0_15:
	s_or_b32 exec_lo, exec_lo, s1
	s_wait_loadcnt 0x15
	v_add_f64_e64 v[108:109], v[48:49], -v[102:103]
	s_wait_loadcnt 0x9
	v_add_f64_e64 v[132:133], v[28:29], -v[78:79]
	;; [unrolled: 2-line block ×3, first 2 shown]
	v_add_f64_e64 v[112:113], v[40:41], -v[98:99]
	v_add_f64_e64 v[116:117], v[44:45], -v[94:95]
	v_add_f64_e64 v[120:121], v[32:33], -v[90:91]
	v_add_f64_e64 v[124:125], v[36:37], -v[86:87]
	v_add_f64_e64 v[128:129], v[24:25], -v[82:83]
	v_add_f64_e64 v[136:137], v[16:17], -v[72:73]
	v_add_f64_e64 v[140:141], v[20:21], -v[68:69]
	v_add_f64_e64 v[144:145], v[4:5], -v[64:65]
	v_add_f64_e64 v[148:149], v[8:9], -v[56:57]
	v_add_f64_e64 v[156:157], v[0:1], -v[52:53]
	v_add_nc_u32_e32 v164, 56, v163
	v_add_nc_u32_e32 v165, 0x70, v163
	;; [unrolled: 1-line block ×4, first 2 shown]
	v_cmp_gt_u32_e64 s0, 28, v163
	v_fma_f64 v[106:107], v[48:49], 2.0, -v[108:109]
	v_fma_f64 v[130:131], v[28:29], 2.0, -v[132:133]
	;; [unrolled: 1-line block ×13, first 2 shown]
	v_add_nc_u32_e32 v17, 0x118, v163
	v_add_nc_u32_e32 v20, 0x150, v163
	;; [unrolled: 1-line block ×7, first 2 shown]
	v_lshl_add_u32 v44, v163, 4, 0
	v_lshl_add_u32 v13, v159, 4, 0
	;; [unrolled: 1-line block ×13, first 2 shown]
	ds_store_b128 v44, v[106:109]
	ds_store_b128 v49, v[110:113]
	;; [unrolled: 1-line block ×12, first 2 shown]
	s_and_saveexec_b32 s1, s0
	s_cbranch_execz .LBB0_17
; %bb.16:
	ds_store_b128 v12, v[76:79]
.LBB0_17:
	s_wait_alu 0xfffe
	s_or_b32 exec_lo, exec_lo, s1
	v_lshl_add_u32 v162, v163, 3, 0
	global_wb scope:SCOPE_SE
	s_wait_dscnt 0x0
	s_wait_kmcnt 0x0
	s_barrier_signal -1
	s_barrier_wait -1
	global_inv scope:SCOPE_SE
	v_add_nc_u32_e32 v0, 0x1000, v162
	v_add_nc_u32_e32 v1, 0x1400, v162
	;; [unrolled: 1-line block ×4, first 2 shown]
	ds_load_2addr_b64 v[130:133], v162 offset1:56
	ds_load_2addr_b64 v[114:117], v0 offset0:104 offset1:188
	ds_load_2addr_b64 v[110:113], v1 offset0:116 offset1:172
	;; [unrolled: 1-line block ×4, first 2 shown]
	v_add_nc_u32_e32 v0, 0x1c00, v162
	v_add_nc_u32_e32 v1, 0x800, v162
	v_add_nc_u32_e32 v4, 0x2000, v162
	ds_load_2addr_b64 v[138:141], v5 offset0:96 offset1:152
	v_add_nc_u32_e32 v5, 0xc00, v162
	v_lshl_add_u32 v160, v159, 3, 0
	ds_load_2addr_b64 v[126:129], v0 offset0:84 offset1:140
	ds_load_2addr_b64 v[146:149], v1 offset0:80 offset1:136
	;; [unrolled: 1-line block ×5, first 2 shown]
	ds_load_b64 v[8:9], v160
	ds_load_b64 v[0:1], v162 offset:10528
	s_and_saveexec_b32 s1, s0
	s_cbranch_execz .LBB0_19
; %bb.18:
	ds_load_b64 v[76:77], v162 offset:5376
	ds_load_b64 v[78:79], v162 offset:10976
.LBB0_19:
	s_wait_alu 0xfffe
	s_or_b32 exec_lo, exec_lo, s1
	v_add_f64_e64 v[52:53], v[50:51], -v[104:105]
	v_add_f64_e64 v[102:103], v[2:3], -v[54:55]
	;; [unrolled: 1-line block ×13, first 2 shown]
	global_wb scope:SCOPE_SE
	s_wait_dscnt 0x0
	s_barrier_signal -1
	s_barrier_wait -1
	global_inv scope:SCOPE_SE
	v_fma_f64 v[50:51], v[50:51], 2.0, -v[52:53]
	v_fma_f64 v[100:101], v[2:3], 2.0, -v[102:103]
	;; [unrolled: 1-line block ×13, first 2 shown]
	ds_store_b128 v44, v[50:53]
	ds_store_b128 v49, v[54:57]
	;; [unrolled: 1-line block ×12, first 2 shown]
	s_and_saveexec_b32 s1, s0
	s_cbranch_execz .LBB0_21
; %bb.20:
	ds_store_b128 v12, v[2:5]
.LBB0_21:
	s_wait_alu 0xfffe
	s_or_b32 exec_lo, exec_lo, s1
	v_add_nc_u32_e32 v6, 0x1000, v162
	v_add_nc_u32_e32 v7, 0x1400, v162
	;; [unrolled: 1-line block ×3, first 2 shown]
	global_wb scope:SCOPE_SE
	s_wait_dscnt 0x0
	s_barrier_signal -1
	s_barrier_wait -1
	global_inv scope:SCOPE_SE
	ds_load_2addr_b64 v[34:37], v162 offset1:56
	ds_load_2addr_b64 v[10:13], v6 offset0:104 offset1:188
	ds_load_2addr_b64 v[54:57], v7 offset0:116 offset1:172
	;; [unrolled: 1-line block ×4, first 2 shown]
	v_add_nc_u32_e32 v6, 0x400, v162
	v_add_nc_u32_e32 v7, 0x1c00, v162
	;; [unrolled: 1-line block ×5, first 2 shown]
	ds_load_2addr_b64 v[46:49], v6 offset0:96 offset1:152
	ds_load_2addr_b64 v[62:65], v7 offset0:84 offset1:140
	ds_load_2addr_b64 v[50:53], v14 offset0:80 offset1:136
	ds_load_2addr_b64 v[66:69], v15 offset0:68 offset1:124
	ds_load_2addr_b64 v[42:45], v18 offset0:120 offset1:176
	ds_load_2addr_b64 v[70:73], v15 offset0:180 offset1:236
	ds_load_b64 v[154:155], v160
	ds_load_b64 v[156:157], v162 offset:10528
	v_lshlrev_b32_e32 v177, 1, v163
	v_lshlrev_b32_e32 v176, 1, v164
	;; [unrolled: 1-line block ×12, first 2 shown]
	s_and_saveexec_b32 s1, s0
	s_cbranch_execz .LBB0_23
; %bb.22:
	ds_load_b64 v[2:3], v162 offset:5376
	ds_load_b64 v[4:5], v162 offset:10976
.LBB0_23:
	s_wait_alu 0xfffe
	s_or_b32 exec_lo, exec_lo, s1
	v_and_b32_e32 v178, 1, v163
	v_lshlrev_b32_e32 v159, 1, v16
	s_delay_alu instid0(VALU_DEP_2)
	v_lshlrev_b32_e32 v6, 4, v178
	v_and_or_b32 v16, 0x7c, v177, v178
	v_and_or_b32 v33, 0xfc, v176, v178
	;; [unrolled: 1-line block ×3, first 2 shown]
	global_load_b128 v[84:87], v6, s[8:9]
	global_wb scope:SCOPE_SE
	s_wait_loadcnt_dscnt 0x0
	s_barrier_signal -1
	s_barrier_wait -1
	global_inv scope:SCOPE_SE
	v_mul_f64_e32 v[6:7], v[12:13], v[86:87]
	v_mul_f64_e32 v[82:83], v[4:5], v[86:87]
	;; [unrolled: 1-line block ×13, first 2 shown]
	v_fma_f64 v[6:7], v[116:117], v[84:85], v[6:7]
	v_fma_f64 v[82:83], v[78:79], v[84:85], v[82:83]
	;; [unrolled: 1-line block ×13, first 2 shown]
	v_add_f64_e64 v[6:7], v[130:131], -v[6:7]
	v_add_f64_e64 v[100:101], v[76:77], -v[82:83]
	v_add_f64_e64 v[14:15], v[132:133], -v[14:15]
	v_add_f64_e64 v[17:18], v[134:135], -v[17:18]
	v_add_f64_e64 v[19:20], v[136:137], -v[19:20]
	v_add_f64_e64 v[21:22], v[138:139], -v[21:22]
	v_add_f64_e64 v[23:24], v[140:141], -v[23:24]
	v_add_f64_e64 v[25:26], v[146:147], -v[25:26]
	v_add_f64_e64 v[27:28], v[148:149], -v[27:28]
	v_add_f64_e64 v[29:30], v[8:9], -v[29:30]
	v_add_f64_e64 v[31:32], v[142:143], -v[31:32]
	v_add_f64_e64 v[74:75], v[144:145], -v[74:75]
	v_add_f64_e64 v[80:81], v[114:115], -v[80:81]
	v_fma_f64 v[82:83], v[130:131], 2.0, -v[6:7]
	v_fma_f64 v[102:103], v[76:77], 2.0, -v[100:101]
	;; [unrolled: 1-line block ×13, first 2 shown]
	v_and_or_b32 v76, 0x1fc, v174, v178
	v_and_or_b32 v77, 0x3fc, v173, v178
	;; [unrolled: 1-line block ×9, first 2 shown]
	v_lshl_add_u32 v130, v16, 3, 0
	v_lshl_add_u32 v131, v33, 3, 0
	;; [unrolled: 1-line block ×12, first 2 shown]
	ds_store_2addr_b64 v130, v[82:83], v[6:7] offset1:2
	ds_store_2addr_b64 v131, v[88:89], v[14:15] offset1:2
	ds_store_2addr_b64 v132, v[90:91], v[17:18] offset1:2
	ds_store_2addr_b64 v133, v[92:93], v[19:20] offset1:2
	ds_store_2addr_b64 v134, v[94:95], v[21:22] offset1:2
	ds_store_2addr_b64 v135, v[96:97], v[23:24] offset1:2
	ds_store_2addr_b64 v136, v[98:99], v[25:26] offset1:2
	ds_store_2addr_b64 v137, v[104:105], v[27:28] offset1:2
	ds_store_2addr_b64 v138, v[8:9], v[29:30] offset1:2
	ds_store_2addr_b64 v139, v[142:143], v[31:32] offset1:2
	ds_store_2addr_b64 v140, v[144:145], v[74:75] offset1:2
	ds_store_2addr_b64 v141, v[114:115], v[80:81] offset1:2
	s_and_saveexec_b32 s1, s0
	s_cbranch_execz .LBB0_25
; %bb.24:
	v_and_or_b32 v6, 0x57c, v159, v178
	s_delay_alu instid0(VALU_DEP_1)
	v_lshl_add_u32 v6, v6, 3, 0
	ds_store_2addr_b64 v6, v[102:103], v[100:101] offset1:2
.LBB0_25:
	s_wait_alu 0xfffe
	s_or_b32 exec_lo, exec_lo, s1
	v_add_nc_u32_e32 v18, 0x400, v162
	v_add_nc_u32_e32 v6, 0x1000, v162
	;; [unrolled: 1-line block ×8, first 2 shown]
	global_wb scope:SCOPE_SE
	s_wait_dscnt 0x0
	s_barrier_signal -1
	s_barrier_wait -1
	global_inv scope:SCOPE_SE
	ds_load_2addr_b64 v[74:77], v162 offset1:56
	ds_load_2addr_b64 v[22:25], v6 offset0:104 offset1:188
	ds_load_2addr_b64 v[14:17], v7 offset0:116 offset1:172
	;; [unrolled: 1-line block ×10, first 2 shown]
	ds_load_b64 v[114:115], v160
	ds_load_b64 v[104:105], v162 offset:10528
	s_and_saveexec_b32 s1, s0
	s_cbranch_execz .LBB0_27
; %bb.26:
	ds_load_b64 v[102:103], v162 offset:5376
	ds_load_b64 v[100:101], v162 offset:10976
.LBB0_27:
	s_wait_alu 0xfffe
	s_or_b32 exec_lo, exec_lo, s1
	v_mul_f64_e32 v[116:117], v[116:117], v[86:87]
	v_mul_f64_e32 v[78:79], v[78:79], v[86:87]
	;; [unrolled: 1-line block ×13, first 2 shown]
	global_wb scope:SCOPE_SE
	s_wait_dscnt 0x0
	s_barrier_signal -1
	s_barrier_wait -1
	global_inv scope:SCOPE_SE
	v_fma_f64 v[12:13], v[12:13], v[84:85], -v[116:117]
	v_fma_f64 v[4:5], v[4:5], v[84:85], -v[78:79]
	;; [unrolled: 1-line block ×13, first 2 shown]
	v_add_f64_e64 v[12:13], v[34:35], -v[12:13]
	v_add_f64_e64 v[84:85], v[2:3], -v[4:5]
	;; [unrolled: 1-line block ×13, first 2 shown]
	v_fma_f64 v[4:5], v[34:35], 2.0, -v[12:13]
	v_fma_f64 v[78:79], v[2:3], 2.0, -v[84:85]
	;; [unrolled: 1-line block ×13, first 2 shown]
	ds_store_2addr_b64 v130, v[4:5], v[12:13] offset1:2
	ds_store_2addr_b64 v131, v[34:35], v[54:55] offset1:2
	;; [unrolled: 1-line block ×12, first 2 shown]
	s_and_saveexec_b32 s1, s0
	s_cbranch_execz .LBB0_29
; %bb.28:
	v_and_or_b32 v0, 0x57c, v159, v178
	s_delay_alu instid0(VALU_DEP_1)
	v_lshl_add_u32 v0, v0, 3, 0
	ds_store_2addr_b64 v0, v[78:79], v[84:85] offset1:2
.LBB0_29:
	s_wait_alu 0xfffe
	s_or_b32 exec_lo, exec_lo, s1
	v_add_nc_u32_e32 v0, 0x1000, v162
	v_add_nc_u32_e32 v1, 0x1400, v162
	v_add_nc_u32_e32 v42, 0x1800, v162
	global_wb scope:SCOPE_SE
	s_wait_dscnt 0x0
	s_barrier_signal -1
	s_barrier_wait -1
	global_inv scope:SCOPE_SE
	ds_load_2addr_b64 v[34:37], v162 offset1:56
	ds_load_2addr_b64 v[2:5], v0 offset0:104 offset1:188
	ds_load_2addr_b64 v[10:13], v1 offset0:116 offset1:172
	;; [unrolled: 1-line block ×4, first 2 shown]
	v_add_nc_u32_e32 v0, 0x400, v162
	v_add_nc_u32_e32 v1, 0x1c00, v162
	;; [unrolled: 1-line block ×5, first 2 shown]
	ds_load_2addr_b64 v[46:49], v0 offset0:96 offset1:152
	ds_load_2addr_b64 v[62:65], v1 offset0:84 offset1:140
	;; [unrolled: 1-line block ×6, first 2 shown]
	ds_load_b64 v[86:87], v160
	ds_load_b64 v[106:107], v162 offset:10528
	s_and_saveexec_b32 s1, s0
	s_cbranch_execz .LBB0_31
; %bb.30:
	ds_load_b64 v[78:79], v162 offset:5376
	ds_load_b64 v[84:85], v162 offset:10976
.LBB0_31:
	s_wait_alu 0xfffe
	s_or_b32 exec_lo, exec_lo, s1
	v_and_b32_e32 v108, 3, v163
	s_delay_alu instid0(VALU_DEP_1)
	v_lshlrev_b32_e32 v0, 4, v108
	v_and_or_b32 v148, 0x78, v177, v108
	v_and_or_b32 v149, 0xf8, v176, v108
	;; [unrolled: 1-line block ×3, first 2 shown]
	global_load_b128 v[58:61], v0, s[8:9] offset:32
	global_wb scope:SCOPE_SE
	s_wait_loadcnt_dscnt 0x0
	s_barrier_signal -1
	s_barrier_wait -1
	global_inv scope:SCOPE_SE
	v_mul_f64_e32 v[0:1], v[4:5], v[60:61]
	v_mul_f64_e32 v[109:110], v[10:11], v[60:61]
	;; [unrolled: 1-line block ×13, first 2 shown]
	v_fma_f64 v[0:1], v[24:25], v[58:59], v[0:1]
	v_fma_f64 v[109:110], v[14:15], v[58:59], v[109:110]
	v_fma_f64 v[111:112], v[16:17], v[58:59], v[111:112]
	v_fma_f64 v[116:117], v[6:7], v[58:59], v[116:117]
	v_fma_f64 v[118:119], v[8:9], v[58:59], v[118:119]
	v_fma_f64 v[120:121], v[30:31], v[58:59], v[120:121]
	v_fma_f64 v[122:123], v[32:33], v[58:59], v[122:123]
	v_fma_f64 v[124:125], v[26:27], v[58:59], v[124:125]
	v_fma_f64 v[126:127], v[28:29], v[58:59], v[126:127]
	v_fma_f64 v[128:129], v[18:19], v[58:59], v[128:129]
	v_fma_f64 v[130:131], v[20:21], v[58:59], v[130:131]
	v_fma_f64 v[132:133], v[104:105], v[58:59], v[132:133]
	v_add_f64_e64 v[136:137], v[74:75], -v[0:1]
	v_fma_f64 v[0:1], v[100:101], v[58:59], v[134:135]
	v_add_f64_e64 v[109:110], v[76:77], -v[109:110]
	v_add_f64_e64 v[111:112], v[80:81], -v[111:112]
	;; [unrolled: 1-line block ×11, first 2 shown]
	v_fma_f64 v[134:135], v[74:75], 2.0, -v[136:137]
	v_add_f64_e64 v[0:1], v[102:103], -v[0:1]
	v_fma_f64 v[138:139], v[76:77], 2.0, -v[109:110]
	v_fma_f64 v[140:141], v[80:81], 2.0, -v[111:112]
	;; [unrolled: 1-line block ×11, first 2 shown]
	v_and_or_b32 v77, 0x1f8, v174, v108
	v_and_or_b32 v80, 0x3f8, v173, v108
	;; [unrolled: 1-line block ×9, first 2 shown]
	v_lshl_add_u32 v74, v148, 3, 0
	v_lshl_add_u32 v75, v149, 3, 0
	;; [unrolled: 1-line block ×12, first 2 shown]
	ds_store_2addr_b64 v74, v[134:135], v[136:137] offset1:4
	ds_store_2addr_b64 v75, v[138:139], v[109:110] offset1:4
	;; [unrolled: 1-line block ×12, first 2 shown]
	s_and_saveexec_b32 s1, s0
	s_cbranch_execz .LBB0_33
; %bb.32:
	v_fma_f64 v[22:23], v[102:103], 2.0, -v[0:1]
	v_and_or_b32 v92, 0x578, v159, v108
	s_delay_alu instid0(VALU_DEP_1)
	v_lshl_add_u32 v92, v92, 3, 0
	ds_store_2addr_b64 v92, v[22:23], v[0:1] offset1:4
.LBB0_33:
	s_wait_alu 0xfffe
	s_or_b32 exec_lo, exec_lo, s1
	v_mul_f64_e32 v[22:23], v[24:25], v[60:61]
	v_mul_f64_e32 v[14:15], v[14:15], v[60:61]
	;; [unrolled: 1-line block ×12, first 2 shown]
	global_wb scope:SCOPE_SE
	s_wait_dscnt 0x0
	s_barrier_signal -1
	s_barrier_wait -1
	global_inv scope:SCOPE_SE
	v_fma_f64 v[4:5], v[4:5], v[58:59], -v[22:23]
	v_fma_f64 v[10:11], v[10:11], v[58:59], -v[14:15]
	;; [unrolled: 1-line block ×4, first 2 shown]
	v_mul_f64_e32 v[28:29], v[100:101], v[60:61]
	v_fma_f64 v[12:13], v[12:13], v[58:59], -v[16:17]
	v_fma_f64 v[6:7], v[54:55], v[58:59], -v[6:7]
	v_fma_f64 v[8:9], v[56:57], v[58:59], -v[8:9]
	v_fma_f64 v[16:17], v[64:65], v[58:59], -v[30:31]
	v_fma_f64 v[22:23], v[66:67], v[58:59], -v[26:27]
	v_fma_f64 v[18:19], v[70:71], v[58:59], -v[18:19]
	v_fma_f64 v[20:21], v[72:73], v[58:59], -v[20:21]
	v_fma_f64 v[26:27], v[106:107], v[58:59], -v[32:33]
	v_add_nc_u32_e32 v60, 0x1800, v162
	v_add_nc_u32_e32 v61, 0x800, v162
	;; [unrolled: 1-line block ×4, first 2 shown]
	v_add_f64_e64 v[65:66], v[34:35], -v[4:5]
	v_add_f64_e64 v[67:68], v[36:37], -v[10:11]
	;; [unrolled: 1-line block ×4, first 2 shown]
	v_fma_f64 v[4:5], v[84:85], v[58:59], -v[28:29]
	v_add_f64_e64 v[69:70], v[38:39], -v[12:13]
	v_add_f64_e64 v[71:72], v[40:41], -v[6:7]
	;; [unrolled: 1-line block ×8, first 2 shown]
	v_add_nc_u32_e32 v6, 0x400, v162
	v_add_nc_u32_e32 v58, 0x1000, v162
	v_add_nc_u32_e32 v59, 0x2000, v162
	ds_load_2addr_b64 v[10:13], v162 offset1:56
	ds_load_2addr_b64 v[14:17], v162 offset0:112 offset1:168
	v_fma_f64 v[84:85], v[34:35], 2.0, -v[65:66]
	v_fma_f64 v[106:107], v[36:37], 2.0, -v[67:68]
	;; [unrolled: 1-line block ×4, first 2 shown]
	v_add_f64_e64 v[4:5], v[78:79], -v[4:5]
	v_fma_f64 v[109:110], v[38:39], 2.0, -v[69:70]
	v_fma_f64 v[111:112], v[40:41], 2.0, -v[71:72]
	;; [unrolled: 1-line block ×8, first 2 shown]
	ds_load_b64 v[2:3], v162 offset:10752
	ds_load_2addr_b64 v[18:21], v6 offset0:96 offset1:152
	ds_load_2addr_b64 v[54:57], v58 offset0:48 offset1:104
	;; [unrolled: 1-line block ×10, first 2 shown]
	global_wb scope:SCOPE_SE
	s_wait_dscnt 0x0
	s_barrier_signal -1
	s_barrier_wait -1
	global_inv scope:SCOPE_SE
	ds_store_2addr_b64 v74, v[84:85], v[65:66] offset1:4
	ds_store_2addr_b64 v75, v[106:107], v[67:68] offset1:4
	ds_store_2addr_b64 v76, v[109:110], v[69:70] offset1:4
	ds_store_2addr_b64 v77, v[111:112], v[71:72] offset1:4
	ds_store_2addr_b64 v80, v[113:114], v[7:8] offset1:4
	ds_store_2addr_b64 v81, v[115:116], v[92:93] offset1:4
	ds_store_2addr_b64 v82, v[117:118], v[94:95] offset1:4
	ds_store_2addr_b64 v83, v[119:120], v[96:97] offset1:4
	ds_store_2addr_b64 v88, v[86:87], v[98:99] offset1:4
	ds_store_2addr_b64 v89, v[121:122], v[100:101] offset1:4
	ds_store_2addr_b64 v90, v[123:124], v[102:103] offset1:4
	ds_store_2addr_b64 v91, v[125:126], v[104:105] offset1:4
	s_and_saveexec_b32 s1, s0
	s_cbranch_execz .LBB0_35
; %bb.34:
	v_fma_f64 v[7:8], v[78:79], 2.0, -v[4:5]
	v_and_or_b32 v9, 0x578, v159, v108
	s_delay_alu instid0(VALU_DEP_1)
	v_lshl_add_u32 v9, v9, 3, 0
	ds_store_2addr_b64 v9, v[7:8], v[4:5] offset1:4
.LBB0_35:
	s_wait_alu 0xfffe
	s_or_b32 exec_lo, exec_lo, s1
	v_and_b32_e32 v62, 7, v163
	global_wb scope:SCOPE_SE
	s_wait_dscnt 0x0
	s_barrier_signal -1
	s_barrier_wait -1
	global_inv scope:SCOPE_SE
	v_lshlrev_b32_e32 v7, 6, v62
	s_mov_b32 s4, 0x134454ff
	s_mov_b32 s5, 0xbfee6f0e
	;; [unrolled: 1-line block ×3, first 2 shown]
	s_wait_alu 0xfffe
	s_mov_b32 s10, s4
	s_clause 0x3
	global_load_b128 v[65:68], v7, s[8:9] offset:112
	global_load_b128 v[69:72], v7, s[8:9] offset:144
	;; [unrolled: 1-line block ×4, first 2 shown]
	ds_load_2addr_b64 v[76:79], v58 offset0:48 offset1:104
	ds_load_2addr_b64 v[138:141], v59 offset0:96 offset1:152
	;; [unrolled: 1-line block ×10, first 2 shown]
	ds_load_b64 v[63:64], v162 offset:10752
	s_mov_b32 s12, 0x4755a5e
	s_mov_b32 s13, 0xbfe2cf23
	;; [unrolled: 1-line block ×6, first 2 shown]
	v_cmp_gt_u32_e64 s0, 32, v163
	s_wait_loadcnt_dscnt 0x30a
	v_mul_f64_e32 v[73:74], v[76:77], v[67:68]
	s_wait_loadcnt_dscnt 0x209
	v_mul_f64_e32 v[84:85], v[138:139], v[71:72]
	;; [unrolled: 2-line block ×4, first 2 shown]
	v_mul_f64_e32 v[80:81], v[78:79], v[67:68]
	s_wait_dscnt 0x5
	v_mul_f64_e32 v[96:97], v[167:168], v[130:131]
	v_mul_f64_e32 v[86:87], v[140:141], v[71:72]
	;; [unrolled: 1-line block ×4, first 2 shown]
	s_wait_dscnt 0x4
	v_mul_f64_e32 v[98:99], v[171:172], v[67:68]
	v_mul_f64_e32 v[100:101], v[169:170], v[130:131]
	s_wait_dscnt 0x3
	v_mul_f64_e32 v[102:103], v[175:176], v[71:72]
	v_mul_f64_e32 v[116:117], v[173:174], v[67:68]
	;; [unrolled: 3-line block ×3, first 2 shown]
	v_mul_f64_e32 v[136:137], v[177:178], v[71:72]
	v_mul_f64_e32 v[148:149], v[144:145], v[67:68]
	;; [unrolled: 1-line block ×4, first 2 shown]
	s_wait_dscnt 0x0
	v_mul_f64_e32 v[187:188], v[63:64], v[71:72]
	v_mul_f64_e32 v[104:105], v[20:21], v[134:135]
	;; [unrolled: 1-line block ×19, first 2 shown]
	v_fma_f64 v[110:111], v[54:55], v[65:66], v[73:74]
	v_fma_f64 v[122:123], v[50:51], v[69:70], v[84:85]
	;; [unrolled: 1-line block ×18, first 2 shown]
	v_mul_f64_e32 v[67:68], v[22:23], v[67:68]
	v_mul_f64_e32 v[219:220], v[28:29], v[130:131]
	v_fma_f64 v[100:101], v[32:33], v[132:133], v[142:143]
	v_fma_f64 v[116:117], v[2:3], v[69:70], v[187:188]
	v_fma_f64 v[136:137], v[8:9], v[132:133], -v[104:105]
	v_fma_f64 v[40:41], v[138:139], v[69:70], -v[191:192]
	;; [unrolled: 1-line block ×18, first 2 shown]
	v_add_f64_e32 v[2:3], v[110:111], v[118:119]
	v_add_f64_e32 v[8:9], v[124:125], v[122:123]
	;; [unrolled: 1-line block ×4, first 2 shown]
	v_add_f64_e64 v[50:51], v[124:125], -v[110:111]
	v_add_f64_e32 v[22:23], v[120:121], v[106:107]
	v_add_f64_e32 v[63:64], v[12:13], v[120:121]
	v_add_f64_e64 v[52:53], v[122:123], -v[118:119]
	v_add_f64_e32 v[24:25], v[86:87], v[94:95]
	v_add_f64_e32 v[26:27], v[84:85], v[112:113]
	;; [unrolled: 3-line block ×3, first 2 shown]
	v_add_f64_e32 v[30:31], v[96:97], v[114:115]
	v_add_f64_e64 v[175:176], v[94:95], -v[112:113]
	v_add_f64_e32 v[32:33], v[90:91], v[102:103]
	v_fma_f64 v[146:147], v[144:145], v[65:66], -v[67:68]
	v_fma_f64 v[144:145], v[185:186], v[128:129], -v[219:220]
	v_add_f64_e32 v[67:68], v[14:15], v[84:85]
	v_add_f64_e32 v[34:35], v[100:101], v[116:117]
	;; [unrolled: 1-line block ×3, first 2 shown]
	v_add_f64_e64 v[38:39], v[136:137], -v[40:41]
	v_add_f64_e64 v[65:66], v[120:121], -v[82:83]
	;; [unrolled: 1-line block ×17, first 2 shown]
	v_fma_f64 v[2:3], v[2:3], -0.5, v[10:11]
	v_fma_f64 v[8:9], v[8:9], -0.5, v[10:11]
	v_add_f64_e64 v[10:11], v[78:79], -v[72:73]
	v_fma_f64 v[20:21], v[20:21], -0.5, v[12:13]
	v_add_f64_e32 v[36:37], v[36:37], v[110:111]
	v_fma_f64 v[12:13], v[22:23], -0.5, v[12:13]
	v_add_f64_e64 v[22:23], v[80:81], -v[74:75]
	v_add_f64_e32 v[63:64], v[63:64], v[82:83]
	v_fma_f64 v[24:25], v[24:25], -0.5, v[14:15]
	v_fma_f64 v[14:15], v[26:27], -0.5, v[14:15]
	v_add_f64_e64 v[26:27], v[138:139], -v[134:135]
	v_fma_f64 v[28:29], v[28:29], -0.5, v[16:17]
	v_add_f64_e32 v[69:70], v[69:70], v[88:89]
	v_fma_f64 v[16:17], v[30:31], -0.5, v[16:17]
	v_add_f64_e64 v[185:186], v[100:101], -v[90:91]
	v_fma_f64 v[32:33], v[32:33], -0.5, v[18:19]
	v_add_f64_e64 v[187:188], v[116:117], -v[102:103]
	v_add_f64_e64 v[30:31], v[146:147], -v[144:145]
	v_add_f64_e32 v[67:68], v[67:68], v[86:87]
	v_fma_f64 v[18:19], v[34:35], -0.5, v[18:19]
	v_add_f64_e64 v[34:35], v[106:107], -v[92:93]
	v_add_f64_e32 v[128:129], v[128:129], v[90:91]
	v_add_f64_e64 v[189:190], v[90:91], -v[100:101]
	v_add_f64_e64 v[191:192], v[102:103], -v[116:117]
	v_add_f64_e32 v[50:51], v[50:51], v[52:53]
	v_lshrrev_b32_e32 v71, 3, v163
	v_add_f64_e32 v[52:53], v[54:55], v[56:57]
	v_add_f64_e32 v[54:55], v[159:160], v[167:168]
	s_delay_alu instid0(VALU_DEP_3) | instskip(SKIP_2) | instid1(VALU_DEP_3)
	v_mul_u32_u24_e32 v71, 40, v71
	v_add_f64_e32 v[56:57], v[169:170], v[171:172]
	v_add_f64_e32 v[159:160], v[177:178], v[179:180]
	v_or_b32_e32 v71, v71, v62
	v_add_f64_e32 v[167:168], v[181:182], v[183:184]
	v_fma_f64 v[193:194], v[38:39], s[4:5], v[2:3]
	s_wait_alu 0xfffe
	v_fma_f64 v[2:3], v[38:39], s[10:11], v[2:3]
	v_fma_f64 v[195:196], v[48:49], s[10:11], v[8:9]
	;; [unrolled: 1-line block ×17, first 2 shown]
	v_add_f64_e32 v[36:37], v[36:37], v[118:119]
	v_fma_f64 v[211:212], v[30:31], s[10:11], v[18:19]
	v_fma_f64 v[18:19], v[30:31], s[4:5], v[18:19]
	v_add_f64_e32 v[34:35], v[65:66], v[34:35]
	v_add_f64_e32 v[65:66], v[173:174], v[175:176]
	;; [unrolled: 1-line block ×8, first 2 shown]
	v_fma_f64 v[173:174], v[48:49], s[12:13], v[193:194]
	v_fma_f64 v[2:3], v[48:49], s[14:15], v[2:3]
	;; [unrolled: 1-line block ×18, first 2 shown]
	v_add_f64_e32 v[32:33], v[36:37], v[122:123]
	v_fma_f64 v[181:182], v[156:157], s[12:13], v[211:212]
	v_fma_f64 v[156:157], v[156:157], s[14:15], v[18:19]
	ds_load_2addr_b64 v[20:23], v162 offset1:56
	ds_load_2addr_b64 v[16:19], v162 offset0:112 offset1:168
	global_wb scope:SCOPE_SE
	s_wait_dscnt 0x0
	v_add_f64_e32 v[36:37], v[63:64], v[106:107]
	v_add_f64_e32 v[63:64], v[67:68], v[112:113]
	;; [unrolled: 1-line block ×4, first 2 shown]
	s_barrier_signal -1
	s_barrier_wait -1
	global_inv scope:SCOPE_SE
	v_fma_f64 v[128:129], v[50:51], s[16:17], v[173:174]
	v_fma_f64 v[2:3], v[50:51], s[16:17], v[2:3]
	;; [unrolled: 1-line block ×18, first 2 shown]
	v_lshrrev_b32_e32 v30, 3, v164
	v_fma_f64 v[10:11], v[171:172], s[16:17], v[181:182]
	v_fma_f64 v[12:13], v[171:172], s[16:17], v[156:157]
	v_lshrrev_b32_e32 v31, 3, v165
	v_lshrrev_b32_e32 v148, 3, v166
	;; [unrolled: 1-line block ×3, first 2 shown]
	v_mul_u32_u24_e32 v30, 40, v30
	v_lshl_add_u32 v156, v71, 3, 0
	v_mul_u32_u24_e32 v31, 40, v31
	v_mul_u32_u24_e32 v148, 40, v148
	;; [unrolled: 1-line block ×3, first 2 shown]
	v_or_b32_e32 v30, v30, v62
	s_delay_alu instid0(VALU_DEP_4) | instskip(NEXT) | instid1(VALU_DEP_4)
	v_or_b32_e32 v31, v31, v62
	v_or_b32_e32 v148, v148, v62
	s_delay_alu instid0(VALU_DEP_4) | instskip(NEXT) | instid1(VALU_DEP_4)
	v_or_b32_e32 v62, v149, v62
	v_lshl_add_u32 v155, v30, 3, 0
	s_delay_alu instid0(VALU_DEP_4) | instskip(NEXT) | instid1(VALU_DEP_4)
	v_lshl_add_u32 v154, v31, 3, 0
	v_lshl_add_u32 v149, v148, 3, 0
	s_delay_alu instid0(VALU_DEP_4)
	v_lshl_add_u32 v148, v62, 3, 0
	ds_store_2addr_b64 v156, v[32:33], v[128:129] offset1:8
	ds_store_2addr_b64 v156, v[48:49], v[50:51] offset0:16 offset1:24
	ds_store_b64 v156, v[2:3] offset:256
	ds_store_2addr_b64 v155, v[36:37], v[38:39] offset1:8
	ds_store_2addr_b64 v155, v[52:53], v[54:55] offset0:16 offset1:24
	ds_store_b64 v155, v[34:35] offset:256
	;; [unrolled: 3-line block ×5, first 2 shown]
	global_wb scope:SCOPE_SE
	s_wait_dscnt 0x0
	s_barrier_signal -1
	s_barrier_wait -1
	global_inv scope:SCOPE_SE
	ds_load_2addr_b64 v[28:31], v162 offset1:56
	ds_load_2addr_b64 v[24:27], v162 offset0:112 offset1:200
	ds_load_2addr_b64 v[68:71], v61 offset0:144 offset1:200
	ds_load_2addr_b64 v[52:55], v58 offset1:88
	ds_load_2addr_b64 v[48:51], v60 offset0:32 offset1:88
	ds_load_2addr_b64 v[32:35], v60 offset0:144 offset1:232
	ds_load_2addr_b64 v[64:67], v59 offset0:176 offset1:232
	ds_load_2addr_b64 v[60:63], v61 offset1:56
	ds_load_2addr_b64 v[36:39], v58 offset0:144 offset1:200
	ds_load_2addr_b64 v[56:59], v59 offset0:32 offset1:88
	ds_load_b64 v[132:133], v162 offset:10496
                                        ; implicit-def: $vgpr128_vgpr129
	s_and_saveexec_b32 s1, s0
	s_cbranch_execz .LBB0_37
; %bb.36:
	v_add_nc_u32_e32 v0, 0x400, v162
	v_add_nc_u32_e32 v1, 0x1100, v162
	;; [unrolled: 1-line block ×3, first 2 shown]
	ds_load_2addr_b64 v[8:11], v0 offset0:40 offset1:240
	ds_load_2addr_b64 v[12:15], v1 offset0:24 offset1:224
	;; [unrolled: 1-line block ×3, first 2 shown]
	ds_load_b64 v[128:129], v162 offset:10944
.LBB0_37:
	s_wait_alu 0xfffe
	s_or_b32 exec_lo, exec_lo, s1
	v_add_f64_e32 v[159:160], v[76:77], v[46:47]
	v_add_f64_e32 v[167:168], v[136:137], v[40:41]
	;; [unrolled: 1-line block ×11, first 2 shown]
	v_add_f64_e64 v[122:123], v[124:125], -v[122:123]
	v_add_f64_e64 v[106:107], v[120:121], -v[106:107]
	v_add_f64_e32 v[120:121], v[16:17], v[108:109]
	v_add_f64_e32 v[191:192], v[18:19], v[130:131]
	;; [unrolled: 1-line block ×3, first 2 shown]
	v_add_f64_e64 v[110:111], v[110:111], -v[118:119]
	v_add_f64_e32 v[189:190], v[22:23], v[104:105]
	v_add_f64_e64 v[82:83], v[82:83], -v[92:93]
	v_add_f64_e64 v[84:85], v[84:85], -v[112:113]
	;; [unrolled: 1-line block ×17, first 2 shown]
	global_wb scope:SCOPE_SE
	s_wait_dscnt 0x0
	s_barrier_signal -1
	s_barrier_wait -1
	v_fma_f64 v[159:160], v[159:160], -0.5, v[20:21]
	v_fma_f64 v[20:21], v[167:168], -0.5, v[20:21]
	;; [unrolled: 1-line block ×10, first 2 shown]
	v_add_f64_e64 v[173:174], v[130:131], -v[138:139]
	v_add_f64_e64 v[130:131], v[138:139], -v[130:131]
	v_add_f64_e64 v[179:180], v[142:143], -v[146:147]
	v_add_f64_e64 v[142:143], v[146:147], -v[142:143]
	v_add_f64_e32 v[76:77], v[185:186], v[76:77]
	v_add_f64_e32 v[80:81], v[120:121], v[80:81]
	;; [unrolled: 1-line block ×5, first 2 shown]
	v_add_f64_e64 v[169:170], v[44:45], -v[74:75]
	v_add_f64_e64 v[171:172], v[74:75], -v[44:45]
	;; [unrolled: 1-line block ×6, first 2 shown]
	global_inv scope:SCOPE_SE
	v_add_f64_e32 v[118:119], v[118:119], v[124:125]
	v_add_f64_e32 v[124:125], v[136:137], v[187:188]
	;; [unrolled: 1-line block ×4, first 2 shown]
	v_fma_f64 v[146:147], v[122:123], s[10:11], v[159:160]
	v_fma_f64 v[159:160], v[122:123], s[4:5], v[159:160]
	;; [unrolled: 1-line block ×20, first 2 shown]
	v_add_f64_e32 v[46:47], v[76:77], v[46:47]
	v_add_f64_e32 v[74:75], v[80:81], v[74:75]
	;; [unrolled: 1-line block ×11, first 2 shown]
	v_fma_f64 v[80:81], v[110:111], s[14:15], v[146:147]
	v_fma_f64 v[110:111], v[110:111], s[12:13], v[159:160]
	;; [unrolled: 1-line block ×20, first 2 shown]
	v_add_f64_e32 v[100:101], v[46:47], v[40:41]
	v_add_f64_e32 v[74:75], v[74:75], v[44:45]
	;; [unrolled: 1-line block ×5, first 2 shown]
	v_fma_f64 v[80:81], v[118:119], s[16:17], v[80:81]
	v_fma_f64 v[102:103], v[118:119], s[16:17], v[110:111]
	v_fma_f64 v[110:111], v[124:125], s[16:17], v[120:121]
	v_fma_f64 v[20:21], v[124:125], s[16:17], v[20:21]
	v_fma_f64 v[118:119], v[92:93], s[16:17], v[122:123]
	v_fma_f64 v[82:83], v[92:93], s[16:17], v[82:83]
	v_fma_f64 v[92:93], v[104:105], s[16:17], v[134:135]
	v_fma_f64 v[22:23], v[104:105], s[16:17], v[22:23]
	v_fma_f64 v[104:105], v[112:113], s[16:17], v[106:107]
	v_fma_f64 v[86:87], v[112:113], s[16:17], v[86:87]
	v_fma_f64 v[94:95], v[108:109], s[16:17], v[94:95]
	v_fma_f64 v[16:17], v[108:109], s[16:17], v[16:17]
	v_fma_f64 v[84:85], v[114:115], s[16:17], v[84:85]
	v_fma_f64 v[88:89], v[114:115], s[16:17], v[88:89]
	v_fma_f64 v[98:99], v[116:117], s[16:17], v[98:99]
	v_fma_f64 v[18:19], v[116:117], s[16:17], v[18:19]
	v_fma_f64 v[40:41], v[130:131], s[16:17], v[96:97]
	v_fma_f64 v[42:43], v[136:137], s[16:17], v[138:139]
	v_fma_f64 v[44:45], v[136:137], s[16:17], v[6:7]
	v_fma_f64 v[46:47], v[130:131], s[16:17], v[90:91]
	v_add_nc_u32_e32 v6, 0x800, v162
	v_add_nc_u32_e32 v7, 0x1000, v162
	;; [unrolled: 1-line block ×4, first 2 shown]
                                        ; implicit-def: $vgpr130_vgpr131
	ds_store_2addr_b64 v156, v[100:101], v[80:81] offset1:8
	ds_store_2addr_b64 v156, v[110:111], v[20:21] offset0:16 offset1:24
	ds_store_b64 v156, v[102:103] offset:256
	ds_store_2addr_b64 v155, v[72:73], v[118:119] offset1:8
	ds_store_2addr_b64 v155, v[92:93], v[22:23] offset0:16 offset1:24
	ds_store_b64 v155, v[82:83] offset:256
	;; [unrolled: 3-line block ×5, first 2 shown]
	global_wb scope:SCOPE_SE
	s_wait_dscnt 0x0
	s_barrier_signal -1
	s_barrier_wait -1
	global_inv scope:SCOPE_SE
	ds_load_2addr_b64 v[20:23], v162 offset1:56
	ds_load_2addr_b64 v[16:19], v162 offset0:112 offset1:200
	ds_load_2addr_b64 v[100:103], v6 offset0:144 offset1:200
	ds_load_2addr_b64 v[80:83], v7 offset1:88
	ds_load_2addr_b64 v[92:95], v90 offset0:32 offset1:88
	ds_load_2addr_b64 v[76:79], v90 offset0:144 offset1:232
	;; [unrolled: 1-line block ×3, first 2 shown]
	ds_load_2addr_b64 v[72:75], v6 offset1:56
	ds_load_2addr_b64 v[84:87], v7 offset0:144 offset1:200
	ds_load_2addr_b64 v[88:91], v91 offset0:32 offset1:88
	ds_load_b64 v[136:137], v162 offset:10496
	s_and_saveexec_b32 s1, s0
	s_cbranch_execz .LBB0_39
; %bb.38:
	v_add_nc_u32_e32 v4, 0x400, v162
	v_add_nc_u32_e32 v5, 0x1100, v162
	;; [unrolled: 1-line block ×3, first 2 shown]
	ds_load_2addr_b64 v[40:43], v4 offset0:40 offset1:240
	ds_load_2addr_b64 v[44:47], v5 offset0:24 offset1:224
	;; [unrolled: 1-line block ×3, first 2 shown]
	ds_load_b64 v[130:131], v162 offset:10944
.LBB0_39:
	s_wait_alu 0xfffe
	s_or_b32 exec_lo, exec_lo, s1
	v_and_b32_e32 v104, 0xff, v164
	v_subrev_nc_u32_e32 v105, 40, v163
	v_cmp_gt_u32_e64 s1, 40, v163
	v_and_b32_e32 v107, 0xff, v165
	s_mov_b32 s12, 0xe976ee23
	s_mov_b32 s4, 0x429ad128
	;; [unrolled: 1-line block ×3, first 2 shown]
	s_wait_alu 0xf1ff
	v_cndmask_b32_e64 v142, v105, v163, s1
	v_mov_b32_e32 v105, 0
	v_mul_lo_u16 v104, 0xcd, v104
	v_mul_lo_u16 v107, 0xcd, v107
	s_mov_b32 s10, 0x36b3c0b5
	s_mov_b32 s13, 0x3fe11646
	;; [unrolled: 1-line block ×3, first 2 shown]
	v_lshrrev_b16 v143, 13, v104
	v_mul_i32_i24_e32 v104, 6, v142
	v_lshrrev_b16 v146, 13, v107
	s_mov_b32 s15, 0x3fe948f6
	s_mov_b32 s11, 0x3fac98ee
	v_mul_lo_u16 v106, v143, 40
	v_lshlrev_b64_e32 v[104:105], 4, v[104:105]
	v_mul_lo_u16 v107, v146, 40
	s_mov_b32 s24, 0xb247c609
	s_mov_b32 s18, 0xaaaaaaaa
	v_sub_nc_u16 v106, v164, v106
	s_mov_b32 s16, 0x5476071b
	v_add_co_u32 v104, s1, s8, v104
	s_wait_alu 0xf1ff
	v_add_co_ci_u32_e64 v105, s1, s9, v105, s1
	v_and_b32_e32 v144, 0xff, v106
	v_sub_nc_u16 v107, v165, v107
	s_mov_b32 s25, 0xbfd5d0dc
	s_clause 0x2
	global_load_b128 v[138:141], v[104:105], off offset:624
	global_load_b128 v[167:170], v[104:105], off offset:656
	;; [unrolled: 1-line block ×3, first 2 shown]
	v_mul_u32_u24_e32 v106, 6, v144
	v_and_b32_e32 v145, 0xff, v107
	s_mov_b32 s21, 0x3fd5d0dc
	s_mov_b32 s19, 0xbff2aaaa
	;; [unrolled: 1-line block ×3, first 2 shown]
	v_lshlrev_b32_e32 v106, 4, v106
	v_mul_u32_u24_e32 v107, 6, v145
	s_mov_b32 s23, 0xbfe77f67
	s_wait_alu 0xfffe
	s_mov_b32 s20, s24
	s_mov_b32 s22, s16
	s_clause 0x2
	global_load_b128 v[154:157], v106, s[8:9] offset:624
	global_load_b128 v[175:178], v[104:105], off offset:608
	global_load_b128 v[179:182], v[104:105], off offset:640
	v_lshlrev_b32_e32 v107, 4, v107
	s_clause 0xb
	global_load_b128 v[183:186], v106, s[8:9] offset:688
	global_load_b128 v[187:190], v106, s[8:9] offset:608
	;; [unrolled: 1-line block ×3, first 2 shown]
	global_load_b128 v[195:198], v[104:105], off offset:672
	global_load_b128 v[199:202], v107, s[8:9] offset:624
	global_load_b128 v[203:206], v106, s[8:9] offset:672
	;; [unrolled: 1-line block ×8, first 2 shown]
	v_and_b32_e32 v104, 0xff, v166
	s_mov_b32 s26, 0x37c3f68c
	s_mov_b32 s27, 0xbfdc38aa
	v_cmp_lt_u32_e64 s1, 39, v163
	s_delay_alu instid0(VALU_DEP_2) | instskip(NEXT) | instid1(VALU_DEP_1)
	v_mul_lo_u16 v104, 0xcd, v104
	v_lshrrev_b16 v104, 13, v104
	s_delay_alu instid0(VALU_DEP_1) | instskip(NEXT) | instid1(VALU_DEP_1)
	v_mul_lo_u16 v104, v104, 40
	v_sub_nc_u16 v104, v166, v104
	s_delay_alu instid0(VALU_DEP_1) | instskip(NEXT) | instid1(VALU_DEP_1)
	v_and_b32_e32 v147, 0xff, v104
	v_mul_u32_u24_e32 v104, 6, v147
	s_delay_alu instid0(VALU_DEP_1)
	v_lshlrev_b32_e32 v112, 4, v104
	s_clause 0x5
	global_load_b128 v[104:107], v112, s[8:9] offset:608
	global_load_b128 v[120:123], v112, s[8:9] offset:624
	;; [unrolled: 1-line block ×6, first 2 shown]
	global_wb scope:SCOPE_SE
	s_wait_loadcnt_dscnt 0x0
	s_barrier_signal -1
	s_barrier_wait -1
	global_inv scope:SCOPE_SE
	v_mul_f64_e32 v[134:135], v[100:101], v[140:141]
	v_mul_f64_e32 v[140:141], v[68:69], v[140:141]
	;; [unrolled: 1-line block ×16, first 2 shown]
	v_fma_f64 v[134:135], v[68:69], v[138:139], v[134:135]
	v_fma_f64 v[138:139], v[100:101], v[138:139], -v[140:141]
	v_fma_f64 v[48:49], v[48:49], v[167:168], v[159:160]
	v_mul_f64_e32 v[159:160], v[136:137], v[213:214]
	v_fma_f64 v[64:65], v[64:65], v[171:172], v[231:232]
	v_fma_f64 v[68:69], v[70:71], v[154:155], v[148:149]
	v_mul_f64_e32 v[148:149], v[72:73], v[189:190]
	v_fma_f64 v[100:101], v[102:103], v[154:155], -v[156:157]
	v_mul_f64_e32 v[154:155], v[78:79], v[197:198]
	v_mul_f64_e32 v[156:157], v[80:81], v[201:202]
	v_fma_f64 v[70:71], v[92:93], v[167:168], -v[169:170]
	v_mul_f64_e32 v[167:168], v[34:35], v[197:198]
	v_fma_f64 v[102:103], v[96:97], v[171:172], -v[173:174]
	v_mul_f64_e32 v[96:97], v[94:95], v[217:218]
	v_mul_f64_e32 v[169:170], v[50:51], v[217:218]
	v_fma_f64 v[26:27], v[26:27], v[175:176], v[233:234]
	v_fma_f64 v[140:141], v[18:19], v[175:176], -v[177:178]
	v_mul_f64_e32 v[171:172], v[66:67], v[185:186]
	v_mul_f64_e32 v[173:174], v[60:61], v[189:190]
	v_fma_f64 v[92:93], v[54:55], v[179:180], v[235:236]
	;; [unrolled: 4-line block ×3, first 2 shown]
	v_mul_f64_e32 v[179:180], v[62:63], v[193:194]
	v_mul_f64_e32 v[181:182], v[36:37], v[221:222]
	v_fma_f64 v[54:55], v[62:63], v[191:192], v[239:240]
	v_mul_f64_e32 v[185:186], v[32:33], v[229:230]
	v_fma_f64 v[66:67], v[56:57], v[203:204], v[241:242]
	v_mul_f64_e32 v[189:190], v[132:133], v[213:214]
	v_mul_f64_e32 v[193:194], v[86:87], v[225:226]
	v_fma_f64 v[56:57], v[132:133], v[211:212], v[159:160]
	v_mul_f64_e32 v[159:160], v[76:77], v[229:230]
	v_fma_f64 v[60:61], v[60:61], v[187:188], v[148:149]
	;; [unrolled: 2-line block ×5, first 2 shown]
	v_fma_f64 v[132:133], v[78:79], v[195:196], -v[167:168]
	v_fma_f64 v[50:51], v[50:51], v[215:216], v[96:97]
	v_fma_f64 v[58:59], v[94:95], v[215:216], -v[169:170]
	v_add_f64_e64 v[169:170], v[140:141], -v[102:103]
	v_fma_f64 v[94:95], v[98:99], v[183:184], -v[171:172]
	v_fma_f64 v[96:97], v[72:73], v[187:188], -v[173:174]
	v_add_f64_e32 v[98:99], v[26:27], v[64:65]
	v_add_f64_e32 v[171:172], v[92:93], v[48:49]
	v_fma_f64 v[78:79], v[88:89], v[203:204], -v[175:176]
	v_fma_f64 v[36:37], v[36:37], v[219:220], v[177:178]
	v_fma_f64 v[74:75], v[74:75], v[191:192], -v[179:180]
	v_fma_f64 v[72:73], v[84:85], v[219:220], -v[181:182]
	;; [unrolled: 1-line block ×4, first 2 shown]
	v_fma_f64 v[38:39], v[38:39], v[223:224], v[193:194]
	v_add_f64_e32 v[136:137], v[54:55], v[56:57]
	v_fma_f64 v[32:33], v[32:33], v[227:228], v[159:160]
	v_add_f64_e64 v[159:160], v[70:71], -v[82:83]
	v_fma_f64 v[84:85], v[80:81], v[199:200], -v[148:149]
	v_add_f64_e32 v[167:168], v[134:135], v[62:63]
	v_fma_f64 v[80:81], v[86:87], v[223:224], -v[154:155]
	v_add_f64_e32 v[148:149], v[68:69], v[66:67]
	;; [unrolled: 2-line block ×3, first 2 shown]
	v_add_f64_e32 v[154:155], v[34:35], v[52:53]
	v_add_f64_e64 v[156:157], v[138:139], -v[132:133]
	v_add_f64_e64 v[179:180], v[96:97], -v[94:95]
	;; [unrolled: 1-line block ×4, first 2 shown]
	v_add_f64_e32 v[185:186], v[36:37], v[50:51]
	v_add_f64_e64 v[177:178], v[58:59], -v[72:73]
	v_add_f64_e64 v[189:190], v[74:75], -v[88:89]
	v_add_f64_e32 v[191:192], v[38:39], v[32:33]
	v_add_f64_e32 v[175:176], v[167:168], v[98:99]
	v_add_f64_e64 v[183:184], v[76:77], -v[80:81]
	v_add_f64_e64 v[201:202], v[171:172], -v[167:168]
	;; [unrolled: 1-line block ×3, first 2 shown]
	v_add_f64_e32 v[187:188], v[148:149], v[90:91]
	v_add_f64_e32 v[193:194], v[154:155], v[136:137]
	v_add_f64_e64 v[195:196], v[159:160], -v[156:157]
	v_add_f64_e64 v[197:198], v[156:157], -v[169:170]
	v_add_f64_e32 v[156:157], v[159:160], v[156:157]
	v_add_f64_e64 v[98:99], v[167:168], -v[98:99]
	v_add_f64_e64 v[159:160], v[169:170], -v[159:160]
	v_mul_f64_e32 v[199:200], s[14:15], v[199:200]
	v_add_f64_e64 v[203:204], v[173:174], -v[179:180]
	v_add_f64_e64 v[207:208], v[90:91], -v[185:186]
	;; [unrolled: 1-line block ×3, first 2 shown]
	v_add_f64_e32 v[167:168], v[177:178], v[173:174]
	v_add_f64_e64 v[211:212], v[136:137], -v[191:192]
	v_add_f64_e64 v[136:137], v[154:155], -v[136:137]
	v_add_f64_e32 v[171:172], v[171:172], v[175:176]
	v_add_f64_e64 v[175:176], v[177:178], -v[173:174]
	v_mul_f64_e32 v[213:214], s[10:11], v[201:202]
	v_add_f64_e64 v[205:206], v[183:184], -v[181:182]
	v_add_f64_e32 v[187:188], v[185:186], v[187:188]
	v_add_f64_e64 v[185:186], v[185:186], -v[148:149]
	v_add_f64_e64 v[209:210], v[181:182], -v[189:190]
	v_add_f64_e32 v[193:194], v[191:192], v[193:194]
	v_add_f64_e64 v[191:192], v[191:192], -v[154:155]
	v_add_f64_e32 v[173:174], v[183:184], v[181:182]
	v_mul_f64_e32 v[181:182], s[12:13], v[195:196]
	v_mul_f64_e32 v[195:196], s[4:5], v[197:198]
	v_add_f64_e64 v[183:184], v[189:190], -v[183:184]
	v_add_f64_e64 v[177:178], v[179:180], -v[177:178]
	v_mul_f64_e32 v[207:208], s[14:15], v[207:208]
	v_mul_f64_e32 v[215:216], s[4:5], v[203:204]
	v_add_f64_e32 v[156:157], v[156:157], v[169:170]
	v_add_f64_e32 v[167:168], v[167:168], v[179:180]
	v_mul_f64_e32 v[211:212], s[14:15], v[211:212]
	v_add_f64_e32 v[28:29], v[28:29], v[171:172]
	v_mul_f64_e32 v[175:176], s[12:13], v[175:176]
	v_mul_f64_e32 v[205:206], s[12:13], v[205:206]
	v_add_f64_e32 v[30:31], v[30:31], v[187:188]
	v_mul_f64_e32 v[148:149], s[10:11], v[185:186]
	;; [unrolled: 3-line block ×3, first 2 shown]
	v_add_f64_e32 v[169:170], v[173:174], v[189:190]
	v_fma_f64 v[173:174], v[197:198], s[4:5], -v[181:182]
	v_fma_f64 v[179:180], v[159:160], s[24:25], v[181:182]
	s_wait_alu 0xfffe
	v_fma_f64 v[159:160], v[159:160], s[20:21], -v[195:196]
	v_fma_f64 v[181:182], v[201:202], s[10:11], v[199:200]
	v_fma_f64 v[189:190], v[98:99], s[22:23], -v[199:200]
	v_fma_f64 v[199:200], v[90:91], s[22:23], -v[207:208]
	;; [unrolled: 1-line block ×3, first 2 shown]
	v_fma_f64 v[185:186], v[185:186], s[10:11], v[207:208]
	v_mul_f64_e32 v[207:208], v[4:5], v[110:111]
	v_mul_f64_e32 v[213:214], v[130:131], v[114:115]
	v_fma_f64 v[191:192], v[191:192], s[10:11], v[211:212]
	v_fma_f64 v[201:202], v[136:137], s[22:23], -v[211:212]
	v_mul_f64_e32 v[211:212], v[6:7], v[126:127]
	v_mul_f64_e32 v[126:127], v[2:3], v[126:127]
	v_fma_f64 v[171:172], v[171:172], s[18:19], v[28:29]
	v_fma_f64 v[195:196], v[203:204], s[4:5], -v[175:176]
	v_fma_f64 v[175:176], v[177:178], s[24:25], v[175:176]
	v_fma_f64 v[197:198], v[183:184], s[24:25], v[205:206]
	v_fma_f64 v[177:178], v[177:178], s[20:21], -v[215:216]
	v_fma_f64 v[90:91], v[90:91], s[16:17], -v[148:149]
	;; [unrolled: 1-line block ×4, first 2 shown]
	v_fma_f64 v[193:194], v[193:194], s[18:19], v[24:25]
	v_fma_f64 v[136:137], v[136:137], s[16:17], -v[154:155]
	v_fma_f64 v[187:188], v[187:188], s[18:19], v[30:31]
	v_mul_f64_e32 v[154:155], v[42:43], v[106:107]
	v_mul_f64_e32 v[106:107], v[10:11], v[106:107]
	;; [unrolled: 1-line block ×7, first 2 shown]
	v_fma_f64 v[179:180], v[156:157], s[26:27], v[179:180]
	v_fma_f64 v[173:174], v[156:157], s[26:27], v[173:174]
	;; [unrolled: 1-line block ×3, first 2 shown]
	v_add_f64_e32 v[159:160], v[181:182], v[171:172]
	v_add_f64_e32 v[181:182], v[189:190], v[171:172]
	v_fma_f64 v[189:190], v[167:168], s[26:27], v[195:196]
	v_fma_f64 v[195:196], v[169:170], s[26:27], v[197:198]
	v_add_f64_e32 v[171:172], v[98:99], v[171:172]
	v_fma_f64 v[175:176], v[167:168], s[26:27], v[175:176]
	v_fma_f64 v[148:149], v[169:170], s[26:27], v[148:149]
	;; [unrolled: 1-line block ×3, first 2 shown]
	v_add_f64_e32 v[183:184], v[191:192], v[193:194]
	v_add_f64_e32 v[191:192], v[201:202], v[193:194]
	;; [unrolled: 1-line block ×3, first 2 shown]
	v_mul_f64_e32 v[193:194], v[128:129], v[114:115]
	v_fma_f64 v[167:168], v[167:168], s[26:27], v[177:178]
	v_add_f64_e32 v[177:178], v[185:186], v[187:188]
	v_add_f64_e32 v[185:186], v[199:200], v[187:188]
	;; [unrolled: 1-line block ×3, first 2 shown]
	v_fma_f64 v[90:91], v[10:11], v[104:105], v[154:155]
	v_fma_f64 v[110:111], v[42:43], v[104:105], -v[106:107]
	v_fma_f64 v[98:99], v[12:13], v[120:121], v[203:204]
	v_fma_f64 v[114:115], v[44:45], v[120:121], -v[122:123]
	;; [unrolled: 2-line block ×5, first 2 shown]
	v_fma_f64 v[120:121], v[128:129], v[112:113], v[213:214]
	v_and_b32_e32 v124, 0xffff, v143
	v_and_b32_e32 v125, 0xffff, v146
	s_wait_alu 0xf1ff
	v_cndmask_b32_e64 v126, 0, 0x8c0, s1
	v_lshlrev_b32_e32 v127, 3, v142
	v_lshlrev_b32_e32 v142, 3, v144
	;; [unrolled: 1-line block ×3, first 2 shown]
	v_add_f64_e32 v[0:1], v[179:180], v[159:160]
	v_add_f64_e32 v[2:3], v[156:157], v[181:182]
	v_add_f64_e64 v[10:11], v[181:182], -v[156:157]
	v_add_f64_e64 v[12:13], v[159:160], -v[179:180]
	;; [unrolled: 1-line block ×3, first 2 shown]
	v_add_f64_e32 v[6:7], v[173:174], v[171:172]
	v_add_f64_e32 v[156:157], v[195:196], v[183:184]
	;; [unrolled: 1-line block ×3, first 2 shown]
	v_fma_f64 v[112:113], v[130:131], v[112:113], -v[193:194]
	v_mul_u32_u24_e32 v130, 0x8c0, v124
	v_add_f64_e32 v[14:15], v[175:176], v[177:178]
	v_add_f64_e32 v[42:43], v[167:168], v[185:186]
	v_add_f64_e64 v[44:45], v[187:188], -v[189:190]
	v_add_f64_e32 v[46:47], v[189:190], v[187:188]
	v_add_f64_e64 v[128:129], v[185:186], -v[167:168]
	v_add_f64_e64 v[154:155], v[177:178], -v[175:176]
	;; [unrolled: 1-line block ×3, first 2 shown]
	v_add_f64_e32 v[136:137], v[148:149], v[136:137]
	v_add_f64_e64 v[148:149], v[191:192], -v[169:170]
	v_add_f64_e64 v[169:170], v[183:184], -v[195:196]
	v_mul_u32_u24_e32 v131, 0x8c0, v125
	v_add3_u32 v125, 0, v126, v127
	v_lshl_add_u32 v124, v147, 3, 0
	v_add3_u32 v127, 0, v130, v142
	s_delay_alu instid0(VALU_DEP_4)
	v_add3_u32 v126, 0, v131, v143
	ds_store_2addr_b64 v125, v[28:29], v[0:1] offset1:40
	ds_store_2addr_b64 v125, v[2:3], v[4:5] offset0:80 offset1:120
	ds_store_2addr_b64 v125, v[6:7], v[10:11] offset0:160 offset1:200
	ds_store_b64 v125, v[12:13] offset:1920
	ds_store_2addr_b64 v127, v[30:31], v[14:15] offset1:40
	ds_store_2addr_b64 v127, v[42:43], v[44:45] offset0:80 offset1:120
	ds_store_2addr_b64 v127, v[46:47], v[128:129] offset0:160 offset1:200
	ds_store_b64 v127, v[154:155] offset:1920
	ds_store_2addr_b64 v126, v[24:25], v[156:157] offset1:40
	ds_store_2addr_b64 v126, v[159:160], v[167:168] offset0:80 offset1:120
	ds_store_2addr_b64 v126, v[136:137], v[148:149] offset0:160 offset1:200
	ds_store_b64 v126, v[169:170] offset:1920
	s_and_saveexec_b32 s1, s0
	s_cbranch_execz .LBB0_41
; %bb.40:
	v_add_f64_e32 v[0:1], v[90:91], v[120:121]
	v_add_f64_e32 v[2:3], v[98:99], v[118:119]
	v_add_f64_e64 v[4:5], v[108:109], -v[116:117]
	v_add_f64_e64 v[6:7], v[114:115], -v[122:123]
	v_add_f64_e32 v[10:11], v[104:105], v[106:107]
	v_add_f64_e64 v[12:13], v[110:111], -v[112:113]
	v_add_f64_e32 v[14:15], v[2:3], v[0:1]
	s_delay_alu instid0(VALU_DEP_4) | instskip(NEXT) | instid1(VALU_DEP_4)
	v_add_f64_e64 v[24:25], v[4:5], -v[6:7]
	v_add_f64_e64 v[28:29], v[0:1], -v[10:11]
	s_delay_alu instid0(VALU_DEP_4)
	v_add_f64_e64 v[30:31], v[6:7], -v[12:13]
	v_add_f64_e64 v[42:43], v[12:13], -v[4:5]
	v_add_f64_e32 v[4:5], v[4:5], v[6:7]
	v_add_f64_e64 v[0:1], v[2:3], -v[0:1]
	v_add_f64_e32 v[14:15], v[10:11], v[14:15]
	v_add_f64_e64 v[10:11], v[10:11], -v[2:3]
	v_mul_f64_e32 v[2:3], s[12:13], v[24:25]
	v_mul_f64_e32 v[6:7], s[14:15], v[28:29]
	;; [unrolled: 1-line block ×3, first 2 shown]
	v_add_f64_e32 v[4:5], v[4:5], v[12:13]
	v_add_f64_e32 v[8:9], v[8:9], v[14:15]
	v_mul_f64_e32 v[28:29], s[10:11], v[10:11]
	v_fma_f64 v[12:13], v[42:43], s[24:25], v[2:3]
	v_fma_f64 v[44:45], v[0:1], s[22:23], -v[6:7]
	v_fma_f64 v[6:7], v[10:11], s[10:11], v[6:7]
	v_fma_f64 v[24:25], v[42:43], s[20:21], -v[24:25]
	v_fma_f64 v[2:3], v[30:31], s[4:5], -v[2:3]
	v_fma_f64 v[14:15], v[14:15], s[18:19], v[8:9]
	v_fma_f64 v[0:1], v[0:1], s[16:17], -v[28:29]
	v_fma_f64 v[10:11], v[4:5], s[26:27], v[12:13]
	v_fma_f64 v[12:13], v[4:5], s[26:27], v[24:25]
	v_fma_f64 v[2:3], v[4:5], s[26:27], v[2:3]
	v_add_f64_e32 v[6:7], v[6:7], v[14:15]
	v_add_f64_e32 v[4:5], v[44:45], v[14:15]
	;; [unrolled: 1-line block ×3, first 2 shown]
	s_delay_alu instid0(VALU_DEP_3) | instskip(NEXT) | instid1(VALU_DEP_3)
	v_add_f64_e32 v[28:29], v[10:11], v[6:7]
	v_add_f64_e64 v[14:15], v[4:5], -v[12:13]
	s_delay_alu instid0(VALU_DEP_3)
	v_add_f64_e64 v[24:25], v[0:1], -v[2:3]
	v_add_f64_e32 v[4:5], v[12:13], v[4:5]
	v_add_f64_e32 v[0:1], v[2:3], v[0:1]
	v_add_f64_e64 v[2:3], v[6:7], -v[10:11]
	v_add_nc_u32_e32 v6, 0x2000, v124
	v_add_nc_u32_e32 v7, 0x2800, v124
	ds_store_2addr_b64 v6, v[8:9], v[28:29] offset0:96 offset1:136
	ds_store_2addr_b64 v6, v[4:5], v[24:25] offset0:176 offset1:216
	ds_store_2addr_b64 v7, v[0:1], v[14:15] offset1:40
	ds_store_b64 v124, v[2:3] offset:10880
.LBB0_41:
	s_wait_alu 0xfffe
	s_or_b32 exec_lo, exec_lo, s1
	v_add_f64_e32 v[0:1], v[140:141], v[102:103]
	v_add_f64_e32 v[2:3], v[138:139], v[132:133]
	;; [unrolled: 1-line block ×7, first 2 shown]
	v_add_f64_e64 v[14:15], v[134:135], -v[62:63]
	v_add_f64_e64 v[24:25], v[48:49], -v[92:93]
	;; [unrolled: 1-line block ×3, first 2 shown]
	v_add_f64_e32 v[30:31], v[72:73], v[58:59]
	v_add_f64_e64 v[42:43], v[68:69], -v[66:67]
	v_add_f64_e64 v[36:37], v[50:51], -v[36:37]
	;; [unrolled: 1-line block ×4, first 2 shown]
	v_add_f64_e32 v[46:47], v[80:81], v[76:77]
	v_add_f64_e64 v[32:33], v[32:33], -v[38:39]
	v_add_f64_e64 v[38:39], v[54:55], -v[56:57]
	global_wb scope:SCOPE_SE
	s_wait_dscnt 0x0
	s_barrier_signal -1
	s_barrier_wait -1
	global_inv scope:SCOPE_SE
	v_add_f64_e32 v[28:29], v[2:3], v[0:1]
	v_add_f64_e32 v[44:45], v[6:7], v[4:5]
	;; [unrolled: 1-line block ×3, first 2 shown]
	v_add_f64_e64 v[50:51], v[0:1], -v[12:13]
	v_add_f64_e64 v[52:53], v[12:13], -v[2:3]
	;; [unrolled: 1-line block ×8, first 2 shown]
	v_add_f64_e32 v[2:3], v[24:25], v[14:15]
	v_add_f64_e64 v[14:15], v[26:27], -v[24:25]
	v_add_f64_e64 v[64:65], v[32:33], -v[34:35]
	;; [unrolled: 1-line block ×3, first 2 shown]
	v_add_f64_e32 v[24:25], v[36:37], v[42:43]
	v_add_f64_e32 v[34:35], v[32:33], v[34:35]
	v_add_f64_e64 v[36:37], v[18:19], -v[36:37]
	v_add_f64_e32 v[12:13], v[12:13], v[28:29]
	v_add_f64_e64 v[28:29], v[4:5], -v[30:31]
	;; [unrolled: 2-line block ×4, first 2 shown]
	v_mul_f64_e32 v[42:43], s[14:15], v[50:51]
	v_add_f64_e64 v[4:5], v[6:7], -v[4:5]
	v_mul_f64_e32 v[6:7], s[12:13], v[54:55]
	v_mul_f64_e32 v[50:51], s[10:11], v[52:53]
	;; [unrolled: 1-line block ×5, first 2 shown]
	v_add_f64_e64 v[8:9], v[10:11], -v[8:9]
	v_add_f64_e32 v[2:3], v[2:3], v[26:27]
	v_add_f64_e32 v[68:69], v[20:21], v[12:13]
	v_mul_f64_e32 v[20:21], s[14:15], v[28:29]
	v_add_f64_e32 v[72:73], v[22:23], v[30:31]
	v_mul_f64_e32 v[28:29], s[10:11], v[58:59]
	v_add_f64_e64 v[22:23], v[38:39], -v[32:33]
	v_mul_f64_e32 v[32:33], s[14:15], v[44:45]
	v_mul_f64_e32 v[44:45], s[12:13], v[64:65]
	v_add_f64_e32 v[74:75], v[16:17], v[48:49]
	v_mul_f64_e32 v[10:11], s[10:11], v[46:47]
	v_mul_f64_e32 v[64:65], s[4:5], v[66:67]
	v_add_f64_e32 v[16:17], v[24:25], v[18:19]
	v_add_f64_e32 v[18:19], v[34:35], v[38:39]
	v_fma_f64 v[24:25], v[52:53], s[10:11], v[42:43]
	v_fma_f64 v[34:35], v[14:15], s[24:25], v[6:7]
	v_fma_f64 v[26:27], v[0:1], s[16:17], -v[50:51]
	v_fma_f64 v[0:1], v[0:1], s[22:23], -v[42:43]
	;; [unrolled: 1-line block ×4, first 2 shown]
	v_fma_f64 v[42:43], v[36:37], s[24:25], v[60:61]
	v_fma_f64 v[50:51], v[62:63], s[4:5], -v[60:61]
	v_fma_f64 v[36:37], v[36:37], s[20:21], -v[70:71]
	v_fma_f64 v[12:13], v[12:13], s[18:19], v[68:69]
	v_fma_f64 v[38:39], v[58:59], s[10:11], v[20:21]
	;; [unrolled: 1-line block ×3, first 2 shown]
	v_fma_f64 v[28:29], v[4:5], s[16:17], -v[28:29]
	v_fma_f64 v[4:5], v[4:5], s[22:23], -v[20:21]
	v_fma_f64 v[20:21], v[46:47], s[10:11], v[32:33]
	v_fma_f64 v[46:47], v[22:23], s[24:25], v[44:45]
	v_fma_f64 v[44:45], v[66:67], s[4:5], -v[44:45]
	v_fma_f64 v[48:49], v[48:49], s[18:19], v[74:75]
	v_fma_f64 v[32:33], v[8:9], s[22:23], -v[32:33]
	v_fma_f64 v[8:9], v[8:9], s[16:17], -v[10:11]
	;; [unrolled: 1-line block ×3, first 2 shown]
	v_fma_f64 v[10:11], v[2:3], s[26:27], v[34:35]
	v_fma_f64 v[6:7], v[2:3], s[26:27], v[6:7]
	;; [unrolled: 1-line block ×3, first 2 shown]
	v_add_f64_e32 v[24:25], v[24:25], v[12:13]
	v_add_f64_e32 v[34:35], v[0:1], v[12:13]
	v_add_f64_e32 v[12:13], v[26:27], v[12:13]
	v_fma_f64 v[26:27], v[16:17], s[26:27], v[42:43]
	v_fma_f64 v[42:43], v[16:17], s[26:27], v[50:51]
	;; [unrolled: 1-line block ×3, first 2 shown]
	v_add_f64_e32 v[36:37], v[38:39], v[30:31]
	v_add_f64_e32 v[4:5], v[4:5], v[30:31]
	;; [unrolled: 1-line block ×3, first 2 shown]
	v_fma_f64 v[38:39], v[18:19], s[26:27], v[44:45]
	v_add_f64_e32 v[8:9], v[8:9], v[48:49]
	v_fma_f64 v[30:31], v[18:19], s[26:27], v[46:47]
	v_add_f64_e32 v[20:21], v[20:21], v[48:49]
	;; [unrolled: 2-line block ×3, first 2 shown]
	v_add_nc_u32_e32 v32, 0x1000, v162
	v_add_nc_u32_e32 v33, 0x2400, v162
	;; [unrolled: 1-line block ×3, first 2 shown]
	ds_load_2addr_b64 v[0:3], v162 offset1:56
	v_add_f64_e64 v[50:51], v[24:25], -v[10:11]
	v_add_f64_e64 v[52:53], v[34:35], -v[14:15]
	v_add_f64_e32 v[54:55], v[6:7], v[12:13]
	v_add_f64_e64 v[56:57], v[12:13], -v[6:7]
	v_add_f64_e32 v[58:59], v[14:15], v[34:35]
	v_add_f64_e32 v[60:61], v[10:11], v[24:25]
	v_add_f64_e64 v[62:63], v[36:37], -v[26:27]
	v_add_f64_e64 v[64:65], v[4:5], -v[16:17]
	v_add_f64_e32 v[66:67], v[42:43], v[28:29]
	v_add_f64_e64 v[70:71], v[28:29], -v[42:43]
	v_add_f64_e32 v[84:85], v[38:39], v[8:9]
	v_add_f64_e64 v[86:87], v[8:9], -v[38:39]
	v_add_nc_u32_e32 v8, 0x400, v162
	v_add_f64_e32 v[76:77], v[16:17], v[4:5]
	v_add_f64_e32 v[78:79], v[26:27], v[36:37]
	v_add_nc_u32_e32 v28, 0x1800, v162
	v_add_f64_e64 v[80:81], v[20:21], -v[30:31]
	v_add_nc_u32_e32 v12, 0x2000, v162
	v_add_nc_u32_e32 v42, 0x800, v162
	v_add_f64_e64 v[82:83], v[22:23], -v[18:19]
	v_add_f64_e32 v[88:89], v[18:19], v[22:23]
	v_add_f64_e32 v[92:93], v[30:31], v[20:21]
	ds_load_2addr_b64 v[4:7], v162 offset0:112 offset1:168
	ds_load_b64 v[160:161], v162 offset:10752
	ds_load_2addr_b64 v[8:11], v8 offset0:96 offset1:152
	ds_load_2addr_b64 v[16:19], v32 offset0:48 offset1:104
	;; [unrolled: 1-line block ×10, first 2 shown]
	global_wb scope:SCOPE_SE
	s_wait_dscnt 0x0
	s_barrier_signal -1
	s_barrier_wait -1
	global_inv scope:SCOPE_SE
	ds_store_2addr_b64 v125, v[68:69], v[50:51] offset1:40
	ds_store_2addr_b64 v125, v[52:53], v[54:55] offset0:80 offset1:120
	ds_store_2addr_b64 v125, v[56:57], v[58:59] offset0:160 offset1:200
	ds_store_b64 v125, v[60:61] offset:1920
	ds_store_2addr_b64 v127, v[72:73], v[62:63] offset1:40
	ds_store_2addr_b64 v127, v[64:65], v[66:67] offset0:80 offset1:120
	ds_store_2addr_b64 v127, v[70:71], v[76:77] offset0:160 offset1:200
	ds_store_b64 v127, v[78:79] offset:1920
	;; [unrolled: 4-line block ×3, first 2 shown]
	s_and_saveexec_b32 s1, s0
	s_cbranch_execz .LBB0_43
; %bb.42:
	v_add_f64_e32 v[50:51], v[110:111], v[112:113]
	v_add_f64_e32 v[52:53], v[114:115], v[122:123]
	;; [unrolled: 1-line block ×3, first 2 shown]
	v_add_f64_e64 v[56:57], v[98:99], -v[118:119]
	v_add_f64_e64 v[58:59], v[106:107], -v[104:105]
	;; [unrolled: 1-line block ×3, first 2 shown]
	s_mov_b32 s4, 0x37e14327
	s_mov_b32 s5, 0x3fe948f6
	s_mov_b32 s17, 0xbfd5d0dc
	s_mov_b32 s16, 0xb247c609
	s_mov_b32 s15, 0x3fe77f67
	s_mov_b32 s14, 0x5476071b
	v_add_f64_e32 v[62:63], v[52:53], v[50:51]
	v_add_f64_e64 v[64:65], v[50:51], -v[54:55]
	v_add_f64_e64 v[66:67], v[54:55], -v[52:53]
	;; [unrolled: 1-line block ×5, first 2 shown]
	v_add_f64_e32 v[52:53], v[58:59], v[56:57]
	v_add_f64_e64 v[56:57], v[60:61], -v[58:59]
	v_add_f64_e32 v[54:55], v[54:55], v[62:63]
	s_wait_alu 0xfffe
	v_mul_f64_e32 v[58:59], s[4:5], v[64:65]
	s_mov_b32 s4, 0x429ad128
	v_mul_f64_e32 v[64:65], s[12:13], v[68:69]
	s_mov_b32 s5, 0xbfebfeb5
	v_mul_f64_e32 v[62:63], s[10:11], v[66:67]
	s_wait_alu 0xfffe
	v_mul_f64_e32 v[68:69], s[4:5], v[70:71]
	s_mov_b32 s12, 0xaaaaaaaa
	s_mov_b32 s13, 0xbff2aaaa
	v_add_f64_e32 v[52:53], v[52:53], v[60:61]
	v_add_f64_e32 v[40:41], v[40:41], v[54:55]
	v_fma_f64 v[60:61], v[66:67], s[10:11], v[58:59]
	v_fma_f64 v[66:67], v[56:57], s[16:17], v[64:65]
	s_mov_b32 s17, 0x3fd5d0dc
	v_fma_f64 v[62:63], v[50:51], s[14:15], -v[62:63]
	s_mov_b32 s15, 0xbfe77f67
	v_fma_f64 v[64:65], v[70:71], s[4:5], -v[64:65]
	s_wait_alu 0xfffe
	v_fma_f64 v[56:57], v[56:57], s[16:17], -v[68:69]
	v_fma_f64 v[50:51], v[50:51], s[14:15], -v[58:59]
	s_mov_b32 s4, 0x37c3f68c
	s_mov_b32 s5, 0xbfdc38aa
	v_fma_f64 v[54:55], v[54:55], s[12:13], v[40:41]
	s_wait_alu 0xfffe
	v_fma_f64 v[58:59], v[52:53], s[4:5], v[66:67]
	v_fma_f64 v[64:65], v[52:53], s[4:5], v[64:65]
	;; [unrolled: 1-line block ×3, first 2 shown]
	s_delay_alu instid0(VALU_DEP_4) | instskip(SKIP_2) | instid1(VALU_DEP_3)
	v_add_f64_e32 v[56:57], v[60:61], v[54:55]
	v_add_f64_e32 v[50:51], v[50:51], v[54:55]
	;; [unrolled: 1-line block ×3, first 2 shown]
	v_add_f64_e64 v[60:61], v[56:57], -v[58:59]
	s_delay_alu instid0(VALU_DEP_3) | instskip(NEXT) | instid1(VALU_DEP_3)
	v_add_f64_e64 v[62:63], v[50:51], -v[52:53]
	v_add_f64_e32 v[66:67], v[64:65], v[54:55]
	v_add_f64_e64 v[54:55], v[54:55], -v[64:65]
	v_add_f64_e32 v[50:51], v[52:53], v[50:51]
	v_add_f64_e32 v[52:53], v[58:59], v[56:57]
	v_add_nc_u32_e32 v56, 0x2000, v124
	v_add_nc_u32_e32 v57, 0x2800, v124
	ds_store_2addr_b64 v56, v[40:41], v[60:61] offset0:96 offset1:136
	ds_store_2addr_b64 v56, v[62:63], v[66:67] offset0:176 offset1:216
	ds_store_2addr_b64 v57, v[54:55], v[50:51] offset1:40
	ds_store_b64 v124, v[52:53] offset:10880
.LBB0_43:
	s_wait_alu 0xfffe
	s_or_b32 exec_lo, exec_lo, s1
	global_wb scope:SCOPE_SE
	s_wait_dscnt 0x0
	s_barrier_signal -1
	s_barrier_wait -1
	global_inv scope:SCOPE_SE
	s_and_saveexec_b32 s0, vcc_lo
	s_cbranch_execz .LBB0_45
; %bb.44:
	v_dual_mov_b32 v159, 0 :: v_dual_lshlrev_b32 v158, 2, v158
	v_add_nc_u32_e32 v172, 56, v163
	v_mad_co_u64_u32 v[167:168], null, s2, v152, 0
	v_add_nc_u32_e32 v174, 0x70, v163
	s_delay_alu instid0(VALU_DEP_4) | instskip(SKIP_3) | instid1(VALU_DEP_3)
	v_lshlrev_b64_e32 v[40:41], 4, v[158:159]
	v_dual_mov_b32 v171, v159 :: v_dual_lshlrev_b32 v158, 2, v166
	v_dual_mov_b32 v173, v159 :: v_dual_add_nc_u32 v176, 0xa8, v163
	v_lshrrev_b32_e32 v166, 3, v172
	v_lshlrev_b64_e32 v[50:51], 4, v[158:159]
	v_add_co_u32 v40, vcc_lo, s8, v40
	s_wait_alu 0xfffd
	v_add_co_ci_u32_e32 v41, vcc_lo, s9, v41, vcc_lo
	v_lshlrev_b32_e32 v158, 2, v165
	s_delay_alu instid0(VALU_DEP_4)
	v_add_co_u32 v50, vcc_lo, s8, v50
	s_wait_alu 0xfffd
	v_add_co_ci_u32_e32 v51, vcc_lo, s9, v51, vcc_lo
	s_clause 0x2
	global_load_b128 v[66:69], v[40:41], off offset:4480
	global_load_b128 v[58:61], v[50:51], off offset:4480
	;; [unrolled: 1-line block ×3, first 2 shown]
	v_lshlrev_b64_e32 v[52:53], 4, v[158:159]
	global_load_b128 v[86:89], v[50:51], off offset:4448
	v_dual_mov_b32 v175, v159 :: v_dual_lshlrev_b32 v158, 2, v164
	v_mov_b32_e32 v207, v159
	v_mul_lo_u32 v165, s2, v153
	v_add_co_u32 v90, vcc_lo, s8, v52
	s_wait_alu 0xfffd
	v_add_co_ci_u32_e32 v91, vcc_lo, s9, v53, vcc_lo
	s_clause 0x5
	global_load_b128 v[82:85], v[50:51], off offset:4464
	global_load_b128 v[78:81], v[90:91], off offset:4464
	;; [unrolled: 1-line block ×6, first 2 shown]
	v_lshlrev_b64_e32 v[40:41], 4, v[158:159]
	v_lshlrev_b32_e32 v158, 2, v163
	s_clause 0x1
	global_load_b128 v[134:137], v[90:91], off offset:4480
	global_load_b128 v[138:141], v[90:91], off offset:4448
	v_dual_mov_b32 v180, v159 :: v_dual_add_nc_u32 v153, 0x800, v162
	v_dual_mov_b32 v211, v159 :: v_dual_add_nc_u32 v146, 0x1c00, v162
	v_add_co_u32 v40, vcc_lo, s8, v40
	v_lshlrev_b64_e32 v[90:91], 4, v[158:159]
	s_wait_alu 0xfffd
	v_add_co_ci_u32_e32 v41, vcc_lo, s9, v41, vcc_lo
	s_clause 0x3
	global_load_b128 v[110:113], v[40:41], off offset:4464
	global_load_b128 v[102:105], v[40:41], off offset:4448
	global_load_b128 v[98:101], v[40:41], off offset:4496
	global_load_b128 v[106:109], v[40:41], off offset:4480
	v_add_co_u32 v40, vcc_lo, s8, v90
	s_wait_alu 0xfffd
	v_add_co_ci_u32_e32 v41, vcc_lo, s9, v91, vcc_lo
	s_clause 0x3
	global_load_b128 v[114:117], v[40:41], off offset:4464
	global_load_b128 v[122:125], v[40:41], off offset:4448
	global_load_b128 v[118:121], v[40:41], off offset:4496
	global_load_b128 v[126:129], v[40:41], off offset:4480
	v_mul_lo_u32 v158, s3, v152
	v_dual_mov_b32 v209, v159 :: v_dual_add_nc_u32 v152, 0x1800, v162
	ds_load_b64 v[40:41], v162 offset:10752
	v_dual_mov_b32 v182, v159 :: v_dual_add_nc_u32 v147, 0x400, v162
	v_add_nc_u32_e32 v154, 0x1000, v162
	v_dual_mov_b32 v206, v159 :: v_dual_add_nc_u32 v155, 0x2400, v162
	ds_load_2addr_b64 v[94:97], v162 offset0:112 offset1:168
	v_add_nc_u32_e32 v164, 0x2000, v162
	ds_load_2addr_b64 v[90:93], v162 offset1:56
	v_lshrrev_b32_e32 v162, 3, v163
	v_lshrrev_b32_e32 v178, 3, v174
	;; [unrolled: 1-line block ×3, first 2 shown]
	v_add3_u32 v168, v168, v165, v158
	v_mul_hi_u32 v158, 0xea0ea0f, v166
	v_add_nc_u32_e32 v177, 0xe0, v163
	v_mul_hi_u32 v162, 0xea0ea0f, v162
	v_mul_hi_u32 v165, 0xea0ea0f, v178
	;; [unrolled: 1-line block ×3, first 2 shown]
	v_lshlrev_b64_e32 v[169:170], 4, v[150:151]
	ds_load_2addr_b64 v[130:133], v152 offset0:16 offset1:72
	ds_load_2addr_b64 v[142:145], v153 offset0:192 offset1:248
	;; [unrolled: 1-line block ×10, first 2 shown]
	v_mov_b32_e32 v164, v159
	v_lshrrev_b32_e32 v181, 3, v177
	v_lshrrev_b32_e32 v158, 1, v158
	;; [unrolled: 1-line block ×3, first 2 shown]
	v_lshlrev_b64_e32 v[167:168], 4, v[167:168]
	v_lshrrev_b32_e32 v208, 1, v178
	v_mul_hi_u32 v181, 0xea0ea0f, v181
	v_mul_u32_u24_e32 v178, 0x118, v158
	v_mul_u32_u24_e32 v179, 0x118, v179
	v_lshrrev_b32_e32 v165, 1, v165
	v_add_co_u32 v167, vcc_lo, s6, v167
	s_delay_alu instid0(VALU_DEP_4)
	v_sub_nc_u32_e32 v172, v172, v178
	s_wait_alu 0xfffd
	v_add_co_ci_u32_e32 v168, vcc_lo, s7, v168, vcc_lo
	v_lshrrev_b32_e32 v230, 1, v181
	v_sub_nc_u32_e32 v163, v163, v179
	v_mad_u32_u24 v158, 0x578, v158, v172
	v_mul_u32_u24_e32 v181, 0x118, v208
	v_mul_u32_u24_e32 v179, 0x118, v165
	;; [unrolled: 1-line block ×3, first 2 shown]
	v_add_co_u32 v183, vcc_lo, v167, v169
	v_dual_mov_b32 v166, v159 :: v_dual_lshlrev_b32 v163, 4, v163
	s_wait_alu 0xfffd
	v_add_co_ci_u32_e32 v184, vcc_lo, v168, v170, vcc_lo
	v_add_nc_u32_e32 v170, 0x118, v158
	v_sub_nc_u32_e32 v210, v176, v181
	v_sub_nc_u32_e32 v231, v177, v205
	v_lshlrev_b64_e32 v[176:177], 4, v[158:159]
	v_sub_nc_u32_e32 v169, v174, v179
	v_add_nc_u32_e32 v172, 0x230, v158
	v_add_nc_u32_e32 v174, 0x348, v158
	;; [unrolled: 1-line block ×3, first 2 shown]
	v_add_co_u32 v167, vcc_lo, v183, v163
	v_lshlrev_b64_e32 v[212:213], 4, v[170:171]
	s_wait_alu 0xfffd
	v_add_co_ci_u32_e32 v168, vcc_lo, 0, v184, vcc_lo
	v_lshlrev_b64_e32 v[214:215], 4, v[172:173]
	v_lshlrev_b64_e32 v[218:219], 4, v[158:159]
	v_mad_u32_u24 v158, 0x578, v165, v169
	v_add_co_u32 v169, vcc_lo, v183, v176
	s_wait_alu 0xfffd
	v_add_co_ci_u32_e32 v170, vcc_lo, v184, v177, vcc_lo
	v_lshlrev_b64_e32 v[216:217], 4, v[174:175]
	v_add_co_u32 v171, vcc_lo, v183, v212
	s_wait_alu 0xfffd
	v_add_co_ci_u32_e32 v172, vcc_lo, v184, v213, vcc_lo
	v_add_co_u32 v173, vcc_lo, v183, v214
	s_wait_alu 0xfffd
	v_add_co_ci_u32_e32 v174, vcc_lo, v184, v215, vcc_lo
	;; [unrolled: 3-line block ×3, first 2 shown]
	v_dual_mov_b32 v162, v159 :: v_dual_add_nc_u32 v179, 0x118, v158
	v_lshlrev_b64_e32 v[220:221], 4, v[158:159]
	v_add_nc_u32_e32 v181, 0x230, v158
	v_add_co_u32 v177, vcc_lo, v183, v218
	s_delay_alu instid0(VALU_DEP_4)
	v_lshlrev_b64_e32 v[212:213], 4, v[179:180]
	s_wait_alu 0xfffd
	v_add_co_ci_u32_e32 v178, vcc_lo, v184, v219, vcc_lo
	v_lshlrev_b64_e32 v[214:215], 4, v[181:182]
	v_add_co_u32 v179, vcc_lo, v183, v220
	s_wait_alu 0xfffd
	v_add_co_ci_u32_e32 v180, vcc_lo, v184, v221, vcc_lo
	v_add_co_u32 v181, vcc_lo, v183, v212
	s_wait_alu 0xfffd
	v_add_co_ci_u32_e32 v182, vcc_lo, v184, v213, vcc_lo
	v_add_nc_u32_e32 v205, 0x348, v158
	v_add_nc_u32_e32 v158, 0x460, v158
	s_mov_b32 s8, 0x134454ff
	s_mov_b32 s9, 0x3fee6f0e
	;; [unrolled: 1-line block ×3, first 2 shown]
	v_lshlrev_b64_e32 v[218:219], 4, v[205:206]
	v_lshlrev_b64_e32 v[226:227], 4, v[158:159]
	v_mad_u32_u24 v158, 0x578, v208, v210
	s_wait_alu 0xfffe
	s_mov_b32 s10, s8
	s_mov_b32 s2, 0x4755a5e
	;; [unrolled: 1-line block ×4, first 2 shown]
	v_add_nc_u32_e32 v206, 0x118, v158
	v_add_nc_u32_e32 v208, 0x230, v158
	;; [unrolled: 1-line block ×3, first 2 shown]
	s_wait_alu 0xfffe
	s_mov_b32 s4, s2
	s_mov_b32 s0, 0x372fe950
	v_lshlrev_b64_e32 v[205:206], 4, v[206:207]
	v_lshlrev_b64_e32 v[207:208], 4, v[208:209]
	;; [unrolled: 1-line block ×3, first 2 shown]
	s_mov_b32 s1, 0x3fd3c6ef
	s_wait_loadcnt 0x13
	v_mul_f64_e32 v[222:223], v[48:49], v[68:69]
	s_wait_dscnt 0x7
	v_mul_f64_e32 v[68:69], v[187:188], v[68:69]
	s_wait_loadcnt 0x12
	v_mul_f64_e32 v[224:225], v[46:47], v[60:61]
	v_mul_f64_e32 v[60:61], v[185:186], v[60:61]
	s_wait_loadcnt 0x11
	v_mul_f64_e32 v[216:217], v[44:45], v[56:57]
	v_mul_f64_e32 v[56:57], v[144:145], v[56:57]
	s_wait_loadcnt 0x10
	v_mul_f64_e32 v[228:229], v[42:43], v[88:89]
	v_mul_f64_e32 v[212:213], v[142:143], v[88:89]
	s_wait_loadcnt 0xe
	v_mul_f64_e32 v[220:221], v[36:37], v[80:81]
	v_fma_f64 v[187:188], v[66:67], v[187:188], -v[222:223]
	v_fma_f64 v[48:49], v[48:49], v[66:67], v[68:69]
	v_mul_f64_e32 v[66:67], v[38:39], v[84:85]
	s_wait_dscnt 0x5
	v_mul_f64_e32 v[68:69], v[191:192], v[84:85]
	v_add_co_u32 v84, vcc_lo, v183, v214
	v_fma_f64 v[185:186], v[58:59], v[185:186], -v[224:225]
	s_wait_alu 0xfffd
	v_add_co_ci_u32_e32 v85, vcc_lo, v184, v215, vcc_lo
	v_mul_f64_e32 v[214:215], v[189:190], v[80:81]
	v_fma_f64 v[46:47], v[46:47], v[58:59], v[60:61]
	s_wait_loadcnt 0xd
	v_mul_f64_e32 v[58:59], v[160:161], v[76:77]
	v_mul_f64_e32 v[60:61], v[40:41], v[76:77]
	s_wait_loadcnt 0xc
	v_mul_f64_e32 v[76:77], v[20:21], v[72:73]
	v_mul_f64_e32 v[72:73], v[130:131], v[72:73]
	v_fma_f64 v[44:45], v[44:45], v[54:55], v[56:57]
	s_wait_loadcnt_dscnt 0xb04
	v_mul_f64_e32 v[56:57], v[195:196], v[64:65]
	v_fma_f64 v[144:145], v[54:55], v[144:145], -v[216:217]
	v_mul_f64_e32 v[54:55], v[34:35], v[64:65]
	v_fma_f64 v[64:65], v[86:87], v[142:143], -v[228:229]
	s_wait_loadcnt 0xa
	v_mul_f64_e32 v[216:217], v[32:33], v[52:53]
	v_fma_f64 v[42:43], v[42:43], v[86:87], v[212:213]
	s_wait_loadcnt 0x8
	v_mul_f64_e32 v[211:212], v[26:27], v[140:141]
	v_mul_f64_e32 v[222:223], v[30:31], v[136:137]
	s_wait_dscnt 0x2
	v_mul_f64_e32 v[136:137], v[203:204], v[136:137]
	v_mul_f64_e32 v[52:53], v[193:194], v[52:53]
	s_wait_loadcnt 0x4
	v_mul_f64_e32 v[224:225], v[201:202], v[108:109]
	v_add_co_u32 v80, vcc_lo, v183, v218
	s_wait_alu 0xfffd
	v_add_co_ci_u32_e32 v81, vcc_lo, v184, v219, vcc_lo
	v_lshlrev_b64_e32 v[218:219], 4, v[158:159]
	v_add_co_u32 v88, vcc_lo, v183, v226
	s_wait_alu 0xfffd
	v_add_co_ci_u32_e32 v89, vcc_lo, v184, v227, vcc_lo
	v_add_nc_u32_e32 v158, 0x460, v158
	v_fma_f64 v[66:67], v[82:83], v[191:192], -v[66:67]
	v_fma_f64 v[38:39], v[38:39], v[82:83], v[68:69]
	v_mul_f64_e32 v[68:69], v[199:200], v[140:141]
	v_fma_f64 v[140:141], v[78:79], v[189:190], -v[220:221]
	v_mul_f64_e32 v[189:190], v[18:19], v[112:113]
	v_mul_f64_e32 v[191:192], v[24:25], v[104:105]
	s_wait_dscnt 0x1
	v_mul_f64_e32 v[220:221], v[156:157], v[112:113]
	v_fma_f64 v[36:37], v[36:37], v[78:79], v[214:215]
	v_mul_f64_e32 v[78:79], v[28:29], v[108:109]
	v_mul_f64_e32 v[213:214], v[14:15], v[100:101]
	v_fma_f64 v[82:83], v[74:75], v[40:41], -v[58:59]
	v_fma_f64 v[86:87], v[160:161], v[74:75], v[60:61]
	s_wait_loadcnt 0x3
	v_mul_f64_e32 v[60:61], v[16:17], v[116:117]
	s_wait_loadcnt 0x2
	v_mul_f64_e32 v[74:75], v[10:11], v[124:125]
	v_fma_f64 v[76:77], v[70:71], v[130:131], -v[76:77]
	v_fma_f64 v[20:21], v[20:21], v[70:71], v[72:73]
	s_wait_loadcnt 0x1
	v_mul_f64_e32 v[70:71], v[12:13], v[120:121]
	s_wait_loadcnt 0x0
	v_mul_f64_e32 v[72:73], v[22:23], v[128:129]
	v_fma_f64 v[34:35], v[34:35], v[62:63], v[56:57]
	v_mul_f64_e32 v[56:57], v[154:155], v[116:117]
	v_mul_f64_e32 v[116:117], v[148:149], v[124:125]
	;; [unrolled: 1-line block ×3, first 2 shown]
	s_wait_dscnt 0x0
	v_mul_f64_e32 v[58:59], v[152:153], v[100:101]
	v_fma_f64 v[54:55], v[62:63], v[195:196], -v[54:55]
	v_mul_f64_e32 v[62:63], v[132:133], v[128:129]
	v_fma_f64 v[128:129], v[50:51], v[193:194], -v[216:217]
	;; [unrolled: 2-line block ×3, first 2 shown]
	v_fma_f64 v[130:131], v[134:135], v[203:204], -v[222:223]
	v_fma_f64 v[30:31], v[30:31], v[134:135], v[136:137]
	v_fma_f64 v[32:33], v[32:33], v[50:51], v[52:53]
	v_add_co_u32 v100, vcc_lo, v183, v218
	s_wait_alu 0xfffd
	v_add_co_ci_u32_e32 v101, vcc_lo, v184, v219, vcc_lo
	v_add_co_u32 v104, vcc_lo, v183, v205
	s_wait_alu 0xfffd
	v_add_co_ci_u32_e32 v105, vcc_lo, v184, v206, vcc_lo
	v_add_co_u32 v108, vcc_lo, v183, v207
	v_fma_f64 v[26:27], v[26:27], v[138:139], v[68:69]
	v_fma_f64 v[50:51], v[110:111], v[156:157], -v[189:190]
	v_fma_f64 v[52:53], v[102:103], v[197:198], -v[191:192]
	s_wait_alu 0xfffd
	v_add_co_ci_u32_e32 v109, vcc_lo, v184, v208, vcc_lo
	v_fma_f64 v[68:69], v[106:107], v[201:202], -v[78:79]
	v_fma_f64 v[78:79], v[98:99], v[152:153], -v[213:214]
	v_add_co_u32 v112, vcc_lo, v183, v209
	v_fma_f64 v[60:61], v[114:115], v[154:155], -v[60:61]
	v_fma_f64 v[74:75], v[122:123], v[148:149], -v[74:75]
	v_lshlrev_b64_e32 v[142:143], 4, v[158:159]
	v_mad_u32_u24 v158, 0x578, v230, v231
	v_fma_f64 v[70:71], v[118:119], v[150:151], -v[70:71]
	v_fma_f64 v[72:73], v[126:127], v[132:133], -v[72:73]
	s_wait_alu 0xfffd
	v_add_co_ci_u32_e32 v113, vcc_lo, v184, v210, vcc_lo
	v_fma_f64 v[10:11], v[10:11], v[122:123], v[116:117]
	v_add_f64_e32 v[116:117], v[44:45], v[86:87]
	v_add_f64_e32 v[122:123], v[20:21], v[48:49]
	v_fma_f64 v[18:19], v[18:19], v[110:111], v[220:221]
	v_fma_f64 v[28:29], v[28:29], v[106:107], v[224:225]
	;; [unrolled: 1-line block ×7, first 2 shown]
	v_add_f64_e64 v[40:41], v[76:77], -v[144:145]
	v_add_f64_e64 v[56:57], v[187:188], -v[82:83]
	v_add_f64_e32 v[58:59], v[144:145], v[82:83]
	v_add_f64_e64 v[62:63], v[144:145], -v[76:77]
	v_add_f64_e64 v[98:99], v[82:83], -v[187:188]
	v_add_f64_e32 v[102:103], v[76:77], v[187:188]
	v_add_f64_e32 v[126:127], v[8:9], v[44:45]
	v_add_f64_e64 v[132:133], v[66:67], -v[64:65]
	v_add_f64_e64 v[150:151], v[185:186], -v[54:55]
	;; [unrolled: 1-line block ×3, first 2 shown]
	v_add_f64_e32 v[154:155], v[42:43], v[34:35]
	v_add_f64_e32 v[156:157], v[38:39], v[46:47]
	;; [unrolled: 1-line block ×4, first 2 shown]
	v_add_f64_e64 v[191:192], v[54:55], -v[185:186]
	v_add_f64_e64 v[203:204], v[38:39], -v[42:43]
	v_add_f64_e32 v[197:198], v[50:51], v[68:69]
	v_add_f64_e32 v[195:196], v[52:53], v[78:79]
	v_add_f64_e64 v[205:206], v[46:47], -v[34:35]
	v_add_f64_e64 v[207:208], v[42:43], -v[38:39]
	;; [unrolled: 1-line block ×6, first 2 shown]
	v_add_f64_e32 v[199:200], v[74:75], v[70:71]
	v_add_f64_e32 v[201:202], v[60:61], v[72:73]
	v_add_f64_e64 v[219:220], v[128:129], -v[130:131]
	v_add_f64_e64 v[223:224], v[36:37], -v[26:27]
	;; [unrolled: 1-line block ×5, first 2 shown]
	v_fma_f64 v[116:117], v[116:117], -0.5, v[8:9]
	v_fma_f64 v[8:9], v[122:123], -0.5, v[8:9]
	v_add_f64_e64 v[122:123], v[52:53], -v[50:51]
	v_add_f64_e64 v[233:234], v[78:79], -v[68:69]
	;; [unrolled: 1-line block ×4, first 2 shown]
	v_add_f64_e32 v[138:139], v[124:125], v[128:129]
	v_add_f64_e32 v[148:149], v[140:141], v[130:131]
	v_add_f64_e64 v[118:119], v[44:45], -v[20:21]
	v_add_f64_e64 v[120:121], v[86:87], -v[48:49]
	v_add_f64_e32 v[134:135], v[64:65], v[54:55]
	v_add_f64_e32 v[136:137], v[66:67], v[185:186]
	;; [unrolled: 1-line block ×6, first 2 shown]
	v_fma_f64 v[58:59], v[58:59], -0.5, v[146:147]
	v_fma_f64 v[102:103], v[102:103], -0.5, v[146:147]
	v_add_f64_e64 v[146:147], v[50:51], -v[52:53]
	v_add_f64_e64 v[231:232], v[68:69], -v[78:79]
	;; [unrolled: 1-line block ×4, first 2 shown]
	v_fma_f64 v[154:155], v[154:155], -0.5, v[6:7]
	v_fma_f64 v[6:7], v[156:157], -0.5, v[6:7]
	;; [unrolled: 1-line block ×4, first 2 shown]
	v_add_f64_e32 v[4:5], v[4:5], v[26:27]
	v_add_f64_e32 v[189:190], v[52:53], v[92:93]
	v_fma_f64 v[195:196], v[195:196], -0.5, v[92:93]
	v_fma_f64 v[197:198], v[197:198], -0.5, v[92:93]
	v_add_f64_e32 v[239:240], v[74:75], v[90:91]
	v_fma_f64 v[199:200], v[199:200], -0.5, v[90:91]
	v_fma_f64 v[201:202], v[201:202], -0.5, v[90:91]
	v_add_f64_e32 v[241:242], v[24:25], v[14:15]
	v_add_f64_e32 v[90:91], v[40:41], v[56:57]
	v_add_f64_e64 v[40:41], v[24:25], -v[18:19]
	v_add_f64_e32 v[92:93], v[62:63], v[98:99]
	v_add_f64_e64 v[56:57], v[14:15], -v[28:29]
	v_add_f64_e32 v[62:63], v[18:19], v[28:29]
	v_add_f64_e32 v[98:99], v[2:3], v[24:25]
	;; [unrolled: 1-line block ×14, first 2 shown]
	v_fma_f64 v[138:139], v[138:139], -0.5, v[94:95]
	v_fma_f64 v[148:149], v[148:149], -0.5, v[94:95]
	v_add_f64_e32 v[94:95], v[110:111], v[114:115]
	v_add_f64_e64 v[110:111], v[60:61], -v[74:75]
	v_add_f64_e64 v[114:115], v[72:73], -v[70:71]
	v_add_f64_e32 v[126:127], v[20:21], v[126:127]
	v_add_f64_e64 v[20:21], v[20:21], -v[48:49]
	v_fma_f64 v[134:135], v[134:135], -0.5, v[96:97]
	v_fma_f64 v[136:137], v[136:137], -0.5, v[96:97]
	v_add_f64_e32 v[96:97], v[118:119], v[120:121]
	v_add_f64_e64 v[118:119], v[74:75], -v[60:61]
	v_add_f64_e64 v[120:121], v[70:71], -v[72:73]
	;; [unrolled: 1-line block ×3, first 2 shown]
	v_add_f64_e32 v[106:107], v[76:77], v[106:107]
	v_add_f64_e64 v[76:77], v[76:77], -v[187:188]
	v_add_f64_e64 v[205:206], v[16:17], -v[10:11]
	;; [unrolled: 1-line block ×3, first 2 shown]
	v_add_f64_e32 v[146:147], v[146:147], v[231:232]
	v_add_f64_e32 v[227:228], v[235:236], v[237:238]
	v_add_f64_e64 v[144:145], v[144:145], -v[82:83]
	v_add_f64_e64 v[42:43], v[42:43], -v[34:35]
	v_add_f64_e32 v[193:194], v[66:67], v[193:194]
	v_add_f64_e32 v[4:5], v[36:37], v[4:5]
	v_add_f64_e64 v[231:232], v[124:125], -v[128:129]
	v_add_f64_e32 v[124:125], v[140:141], v[221:222]
	v_add_f64_e32 v[221:222], v[40:41], v[56:57]
	;; [unrolled: 3-line block ×3, first 2 shown]
	v_add_f64_e64 v[189:190], v[16:17], -v[22:23]
	v_add_f64_e64 v[10:11], v[10:11], -v[12:13]
	;; [unrolled: 1-line block ×4, first 2 shown]
	v_fma_f64 v[237:238], v[241:242], -0.5, v[2:3]
	v_fma_f64 v[2:3], v[62:63], -0.5, v[2:3]
	v_add_f64_e32 v[60:61], v[60:61], v[239:240]
	v_fma_f64 v[62:63], v[215:216], -0.5, v[0:1]
	v_fma_f64 v[0:1], v[122:123], -0.5, v[0:1]
	v_add_f64_e32 v[16:17], v[16:17], v[229:230]
	v_add_f64_e32 v[211:212], v[38:39], v[211:212]
	v_add_f64_e64 v[38:39], v[38:39], -v[46:47]
	v_add_f64_e64 v[66:67], v[66:67], -v[185:186]
	;; [unrolled: 1-line block ×3, first 2 shown]
	v_add_f64_e32 v[233:234], v[110:111], v[114:115]
	v_fma_f64 v[110:111], v[20:21], s[8:9], v[58:59]
	v_fma_f64 v[58:59], v[20:21], s[10:11], v[58:59]
	v_add_f64_e64 v[24:25], v[24:25], -v[14:15]
	v_add_f64_e64 v[52:53], v[52:53], -v[78:79]
	;; [unrolled: 1-line block ×3, first 2 shown]
	v_add_f64_e32 v[241:242], v[118:119], v[120:121]
	v_fma_f64 v[114:115], v[44:45], s[10:11], v[102:103]
	v_fma_f64 v[118:119], v[44:45], s[8:9], v[102:103]
	v_add_f64_e64 v[209:210], v[22:23], -v[12:13]
	v_add_f64_e64 v[223:224], v[12:13], -v[22:23]
	;; [unrolled: 1-line block ×4, first 2 shown]
	v_fma_f64 v[120:121], v[76:77], s[10:11], v[116:117]
	v_fma_f64 v[122:123], v[76:77], s[8:9], v[116:117]
	v_add_f64_e64 v[64:65], v[64:65], -v[54:55]
	v_add_f64_e32 v[98:99], v[187:188], v[106:107]
	v_fma_f64 v[187:188], v[144:145], s[8:9], v[8:9]
	v_fma_f64 v[8:9], v[144:145], s[10:11], v[8:9]
	;; [unrolled: 1-line block ×3, first 2 shown]
	v_add_f64_e32 v[185:186], v[185:186], v[193:194]
	v_add_f64_e32 v[4:5], v[4:5], v[30:31]
	v_fma_f64 v[30:31], v[40:41], s[8:9], v[195:196]
	v_fma_f64 v[195:196], v[40:41], s[10:11], v[195:196]
	v_add_f64_e32 v[28:29], v[18:19], v[28:29]
	v_fma_f64 v[18:19], v[189:190], s[8:9], v[199:200]
	v_fma_f64 v[199:200], v[189:190], s[10:11], v[199:200]
	v_add_f64_e32 v[102:103], v[126:127], v[48:49]
	v_add_f64_e32 v[56:57], v[68:69], v[56:57]
	v_fma_f64 v[136:137], v[42:43], s[8:9], v[136:137]
	v_add_f64_e32 v[60:61], v[72:73], v[60:61]
	v_fma_f64 v[72:73], v[10:11], s[10:11], v[201:202]
	v_fma_f64 v[201:202], v[10:11], s[8:9], v[201:202]
	v_add_f64_e32 v[22:23], v[16:17], v[22:23]
	v_fma_f64 v[16:17], v[74:75], s[10:11], v[0:1]
	v_fma_f64 v[48:49], v[38:39], s[8:9], v[134:135]
	;; [unrolled: 1-line block ×5, first 2 shown]
	v_add_f64_e32 v[46:47], v[211:212], v[46:47]
	v_fma_f64 v[211:212], v[36:37], s[8:9], v[138:139]
	v_fma_f64 v[106:107], v[44:45], s[2:3], v[110:111]
	s_wait_alu 0xfffe
	v_fma_f64 v[110:111], v[44:45], s[4:5], v[58:59]
	v_fma_f64 v[44:45], v[235:236], s[8:9], v[62:63]
	;; [unrolled: 1-line block ×12, first 2 shown]
	v_add_f64_e32 v[205:206], v[205:206], v[209:210]
	v_add_f64_e32 v[209:210], v[219:220], v[223:224]
	v_fma_f64 v[138:139], v[36:37], s[10:11], v[138:139]
	v_fma_f64 v[223:224], v[26:27], s[10:11], v[148:149]
	;; [unrolled: 1-line block ×11, first 2 shown]
	v_add_f64_e32 v[130:131], v[130:131], v[124:125]
	v_fma_f64 v[122:123], v[76:77], s[4:5], v[187:188]
	v_fma_f64 v[124:125], v[76:77], s[2:3], v[8:9]
	;; [unrolled: 1-line block ×3, first 2 shown]
	v_add_f64_e32 v[2:3], v[54:55], v[185:186]
	v_fma_f64 v[185:186], v[24:25], s[4:5], v[195:196]
	v_fma_f64 v[195:196], v[10:11], s[4:5], v[199:200]
	;; [unrolled: 1-line block ×26, first 2 shown]
	v_add_f64_e32 v[42:43], v[70:71], v[60:61]
	v_add_f64_e32 v[40:41], v[22:23], v[12:13]
	v_fma_f64 v[144:145], v[231:232], s[2:3], v[144:145]
	v_fma_f64 v[156:157], v[231:232], s[4:5], v[156:157]
	;; [unrolled: 1-line block ×5, first 2 shown]
	v_add_f64_e32 v[26:27], v[78:79], v[56:57]
	v_lshlrev_b64_e32 v[126:127], 4, v[158:159]
	v_add_f64_e32 v[24:25], v[28:29], v[14:15]
	v_fma_f64 v[10:11], v[150:151], s[0:1], v[76:77]
	v_add_f64_e32 v[16:17], v[4:5], v[32:33]
	v_add_co_u32 v142, vcc_lo, v183, v142
	v_fma_f64 v[66:67], v[233:234], s[0:1], v[195:196]
	v_fma_f64 v[78:79], v[241:242], s[0:1], v[189:190]
	;; [unrolled: 1-line block ×4, first 2 shown]
	v_add_f64_e32 v[0:1], v[46:47], v[34:35]
	v_fma_f64 v[4:5], v[152:153], s[0:1], v[54:55]
	v_fma_f64 v[54:55], v[146:147], s[0:1], v[185:186]
	;; [unrolled: 1-line block ×15, first 2 shown]
	s_wait_alu 0xfffd
	v_add_co_ci_u32_e32 v143, vcc_lo, v184, v143, vcc_lo
	v_add_f64_e32 v[18:19], v[128:129], v[130:131]
	v_fma_f64 v[68:69], v[217:218], s[0:1], v[148:149]
	v_add_co_u32 v148, vcc_lo, v183, v126
	v_fma_f64 v[70:71], v[207:208], s[0:1], v[36:37]
	v_fma_f64 v[22:23], v[150:151], s[0:1], v[38:39]
	;; [unrolled: 1-line block ×4, first 2 shown]
	s_wait_alu 0xfffd
	v_add_co_ci_u32_e32 v149, vcc_lo, v184, v127, vcc_lo
	v_add_f64_e32 v[128:129], v[82:83], v[98:99]
	v_add_f64_e32 v[126:127], v[102:103], v[86:87]
	v_fma_f64 v[6:7], v[132:133], s[0:1], v[8:9]
	v_fma_f64 v[28:29], v[213:214], s[0:1], v[156:157]
	;; [unrolled: 1-line block ×15, first 2 shown]
	v_add_nc_u32_e32 v163, 0x118, v158
	v_add_nc_u32_e32 v165, 0x230, v158
	;; [unrolled: 1-line block ×4, first 2 shown]
	s_clause 0x13
	global_store_b128 v[167:168], v[40:43], off
	global_store_b128 v[167:168], v[76:79], off offset:4480
	global_store_b128 v[167:168], v[64:67], off offset:8960
	;; [unrolled: 1-line block ×4, first 2 shown]
	global_store_b128 v[169:170], v[24:27], off
	global_store_b128 v[171:172], v[72:75], off
	;; [unrolled: 1-line block ×15, first 2 shown]
	v_lshlrev_b64_e32 v[144:145], 4, v[163:164]
	v_lshlrev_b64_e32 v[146:147], 4, v[165:166]
	;; [unrolled: 1-line block ×4, first 2 shown]
	s_delay_alu instid0(VALU_DEP_4)
	v_add_co_u32 v0, vcc_lo, v183, v144
	s_wait_alu 0xfffd
	v_add_co_ci_u32_e32 v1, vcc_lo, v184, v145, vcc_lo
	v_add_co_u32 v4, vcc_lo, v183, v146
	s_wait_alu 0xfffd
	v_add_co_ci_u32_e32 v5, vcc_lo, v184, v147, vcc_lo
	v_add_co_u32 v2, vcc_lo, v183, v2
	s_wait_alu 0xfffd
	v_add_co_ci_u32_e32 v3, vcc_lo, v184, v3, vcc_lo
	v_add_co_u32 v6, vcc_lo, v183, v6
	s_wait_alu 0xfffd
	v_add_co_ci_u32_e32 v7, vcc_lo, v184, v7, vcc_lo
	s_clause 0x4
	global_store_b128 v[148:149], v[126:129], off
	global_store_b128 v[0:1], v[90:93], off
	;; [unrolled: 1-line block ×5, first 2 shown]
.LBB0_45:
	s_nop 0
	s_sendmsg sendmsg(MSG_DEALLOC_VGPRS)
	s_endpgm
	.section	.rodata,"a",@progbits
	.p2align	6, 0x0
	.amdhsa_kernel fft_rtc_back_len1400_factors_2_2_2_5_7_5_wgs_56_tpt_56_halfLds_dp_op_CI_CI_unitstride_sbrr_dirReg
		.amdhsa_group_segment_fixed_size 0
		.amdhsa_private_segment_fixed_size 0
		.amdhsa_kernarg_size 104
		.amdhsa_user_sgpr_count 2
		.amdhsa_user_sgpr_dispatch_ptr 0
		.amdhsa_user_sgpr_queue_ptr 0
		.amdhsa_user_sgpr_kernarg_segment_ptr 1
		.amdhsa_user_sgpr_dispatch_id 0
		.amdhsa_user_sgpr_private_segment_size 0
		.amdhsa_wavefront_size32 1
		.amdhsa_uses_dynamic_stack 0
		.amdhsa_enable_private_segment 0
		.amdhsa_system_sgpr_workgroup_id_x 1
		.amdhsa_system_sgpr_workgroup_id_y 0
		.amdhsa_system_sgpr_workgroup_id_z 0
		.amdhsa_system_sgpr_workgroup_info 0
		.amdhsa_system_vgpr_workitem_id 0
		.amdhsa_next_free_vgpr 245
		.amdhsa_next_free_sgpr 39
		.amdhsa_reserve_vcc 1
		.amdhsa_float_round_mode_32 0
		.amdhsa_float_round_mode_16_64 0
		.amdhsa_float_denorm_mode_32 3
		.amdhsa_float_denorm_mode_16_64 3
		.amdhsa_fp16_overflow 0
		.amdhsa_workgroup_processor_mode 1
		.amdhsa_memory_ordered 1
		.amdhsa_forward_progress 0
		.amdhsa_round_robin_scheduling 0
		.amdhsa_exception_fp_ieee_invalid_op 0
		.amdhsa_exception_fp_denorm_src 0
		.amdhsa_exception_fp_ieee_div_zero 0
		.amdhsa_exception_fp_ieee_overflow 0
		.amdhsa_exception_fp_ieee_underflow 0
		.amdhsa_exception_fp_ieee_inexact 0
		.amdhsa_exception_int_div_zero 0
	.end_amdhsa_kernel
	.text
.Lfunc_end0:
	.size	fft_rtc_back_len1400_factors_2_2_2_5_7_5_wgs_56_tpt_56_halfLds_dp_op_CI_CI_unitstride_sbrr_dirReg, .Lfunc_end0-fft_rtc_back_len1400_factors_2_2_2_5_7_5_wgs_56_tpt_56_halfLds_dp_op_CI_CI_unitstride_sbrr_dirReg
                                        ; -- End function
	.section	.AMDGPU.csdata,"",@progbits
; Kernel info:
; codeLenInByte = 18748
; NumSgprs: 41
; NumVgprs: 245
; ScratchSize: 0
; MemoryBound: 1
; FloatMode: 240
; IeeeMode: 1
; LDSByteSize: 0 bytes/workgroup (compile time only)
; SGPRBlocks: 5
; VGPRBlocks: 30
; NumSGPRsForWavesPerEU: 41
; NumVGPRsForWavesPerEU: 245
; Occupancy: 5
; WaveLimiterHint : 1
; COMPUTE_PGM_RSRC2:SCRATCH_EN: 0
; COMPUTE_PGM_RSRC2:USER_SGPR: 2
; COMPUTE_PGM_RSRC2:TRAP_HANDLER: 0
; COMPUTE_PGM_RSRC2:TGID_X_EN: 1
; COMPUTE_PGM_RSRC2:TGID_Y_EN: 0
; COMPUTE_PGM_RSRC2:TGID_Z_EN: 0
; COMPUTE_PGM_RSRC2:TIDIG_COMP_CNT: 0
	.text
	.p2alignl 7, 3214868480
	.fill 96, 4, 3214868480
	.type	__hip_cuid_9c0c63a6152b06fb,@object ; @__hip_cuid_9c0c63a6152b06fb
	.section	.bss,"aw",@nobits
	.globl	__hip_cuid_9c0c63a6152b06fb
__hip_cuid_9c0c63a6152b06fb:
	.byte	0                               ; 0x0
	.size	__hip_cuid_9c0c63a6152b06fb, 1

	.ident	"AMD clang version 19.0.0git (https://github.com/RadeonOpenCompute/llvm-project roc-6.4.0 25133 c7fe45cf4b819c5991fe208aaa96edf142730f1d)"
	.section	".note.GNU-stack","",@progbits
	.addrsig
	.addrsig_sym __hip_cuid_9c0c63a6152b06fb
	.amdgpu_metadata
---
amdhsa.kernels:
  - .args:
      - .actual_access:  read_only
        .address_space:  global
        .offset:         0
        .size:           8
        .value_kind:     global_buffer
      - .offset:         8
        .size:           8
        .value_kind:     by_value
      - .actual_access:  read_only
        .address_space:  global
        .offset:         16
        .size:           8
        .value_kind:     global_buffer
      - .actual_access:  read_only
        .address_space:  global
        .offset:         24
        .size:           8
        .value_kind:     global_buffer
      - .actual_access:  read_only
        .address_space:  global
        .offset:         32
        .size:           8
        .value_kind:     global_buffer
      - .offset:         40
        .size:           8
        .value_kind:     by_value
      - .actual_access:  read_only
        .address_space:  global
        .offset:         48
        .size:           8
        .value_kind:     global_buffer
      - .actual_access:  read_only
        .address_space:  global
        .offset:         56
        .size:           8
        .value_kind:     global_buffer
      - .offset:         64
        .size:           4
        .value_kind:     by_value
      - .actual_access:  read_only
        .address_space:  global
        .offset:         72
        .size:           8
        .value_kind:     global_buffer
      - .actual_access:  read_only
        .address_space:  global
        .offset:         80
        .size:           8
        .value_kind:     global_buffer
      - .actual_access:  read_only
        .address_space:  global
        .offset:         88
        .size:           8
        .value_kind:     global_buffer
      - .actual_access:  write_only
        .address_space:  global
        .offset:         96
        .size:           8
        .value_kind:     global_buffer
    .group_segment_fixed_size: 0
    .kernarg_segment_align: 8
    .kernarg_segment_size: 104
    .language:       OpenCL C
    .language_version:
      - 2
      - 0
    .max_flat_workgroup_size: 56
    .name:           fft_rtc_back_len1400_factors_2_2_2_5_7_5_wgs_56_tpt_56_halfLds_dp_op_CI_CI_unitstride_sbrr_dirReg
    .private_segment_fixed_size: 0
    .sgpr_count:     41
    .sgpr_spill_count: 0
    .symbol:         fft_rtc_back_len1400_factors_2_2_2_5_7_5_wgs_56_tpt_56_halfLds_dp_op_CI_CI_unitstride_sbrr_dirReg.kd
    .uniform_work_group_size: 1
    .uses_dynamic_stack: false
    .vgpr_count:     245
    .vgpr_spill_count: 0
    .wavefront_size: 32
    .workgroup_processor_mode: 1
amdhsa.target:   amdgcn-amd-amdhsa--gfx1201
amdhsa.version:
  - 1
  - 2
...

	.end_amdgpu_metadata
